;; amdgpu-corpus repo=ROCm/rocFFT kind=compiled arch=gfx1201 opt=O3
	.text
	.amdgcn_target "amdgcn-amd-amdhsa--gfx1201"
	.amdhsa_code_object_version 6
	.protected	fft_rtc_back_len1530_factors_17_3_6_5_wgs_102_tpt_102_halfLds_dp_op_CI_CI_unitstride_sbrr_R2C_dirReg ; -- Begin function fft_rtc_back_len1530_factors_17_3_6_5_wgs_102_tpt_102_halfLds_dp_op_CI_CI_unitstride_sbrr_R2C_dirReg
	.globl	fft_rtc_back_len1530_factors_17_3_6_5_wgs_102_tpt_102_halfLds_dp_op_CI_CI_unitstride_sbrr_R2C_dirReg
	.p2align	8
	.type	fft_rtc_back_len1530_factors_17_3_6_5_wgs_102_tpt_102_halfLds_dp_op_CI_CI_unitstride_sbrr_R2C_dirReg,@function
fft_rtc_back_len1530_factors_17_3_6_5_wgs_102_tpt_102_halfLds_dp_op_CI_CI_unitstride_sbrr_R2C_dirReg: ; @fft_rtc_back_len1530_factors_17_3_6_5_wgs_102_tpt_102_halfLds_dp_op_CI_CI_unitstride_sbrr_R2C_dirReg
; %bb.0:
	s_clause 0x2
	s_load_b128 s[8:11], s[0:1], 0x0
	s_load_b128 s[4:7], s[0:1], 0x58
	;; [unrolled: 1-line block ×3, first 2 shown]
	v_mul_u32_u24_e32 v1, 0x283, v0
	v_mov_b32_e32 v3, 0
	s_delay_alu instid0(VALU_DEP_2) | instskip(NEXT) | instid1(VALU_DEP_1)
	v_lshrrev_b32_e32 v1, 16, v1
	v_add_nc_u32_e32 v5, ttmp9, v1
	v_mov_b32_e32 v1, 0
	v_mov_b32_e32 v2, 0
	;; [unrolled: 1-line block ×3, first 2 shown]
	s_wait_kmcnt 0x0
	v_cmp_lt_u64_e64 s2, s[10:11], 2
	s_delay_alu instid0(VALU_DEP_1)
	s_and_b32 vcc_lo, exec_lo, s2
	s_cbranch_vccnz .LBB0_8
; %bb.1:
	s_load_b64 s[2:3], s[0:1], 0x10
	v_mov_b32_e32 v1, 0
	v_mov_b32_e32 v2, 0
	s_add_nc_u64 s[16:17], s[14:15], 8
	s_add_nc_u64 s[18:19], s[12:13], 8
	s_mov_b64 s[20:21], 1
	s_delay_alu instid0(VALU_DEP_1)
	v_dual_mov_b32 v77, v2 :: v_dual_mov_b32 v76, v1
	s_wait_kmcnt 0x0
	s_add_nc_u64 s[22:23], s[2:3], 8
	s_mov_b32 s3, 0
.LBB0_2:                                ; =>This Inner Loop Header: Depth=1
	s_load_b64 s[24:25], s[22:23], 0x0
                                        ; implicit-def: $vgpr80_vgpr81
	s_mov_b32 s2, exec_lo
	s_wait_kmcnt 0x0
	v_or_b32_e32 v4, s25, v6
	s_delay_alu instid0(VALU_DEP_1)
	v_cmpx_ne_u64_e32 0, v[3:4]
	s_wait_alu 0xfffe
	s_xor_b32 s26, exec_lo, s2
	s_cbranch_execz .LBB0_4
; %bb.3:                                ;   in Loop: Header=BB0_2 Depth=1
	s_cvt_f32_u32 s2, s24
	s_cvt_f32_u32 s27, s25
	s_sub_nc_u64 s[30:31], 0, s[24:25]
	s_wait_alu 0xfffe
	s_delay_alu instid0(SALU_CYCLE_1) | instskip(SKIP_1) | instid1(SALU_CYCLE_2)
	s_fmamk_f32 s2, s27, 0x4f800000, s2
	s_wait_alu 0xfffe
	v_s_rcp_f32 s2, s2
	s_delay_alu instid0(TRANS32_DEP_1) | instskip(SKIP_1) | instid1(SALU_CYCLE_2)
	s_mul_f32 s2, s2, 0x5f7ffffc
	s_wait_alu 0xfffe
	s_mul_f32 s27, s2, 0x2f800000
	s_wait_alu 0xfffe
	s_delay_alu instid0(SALU_CYCLE_2) | instskip(SKIP_1) | instid1(SALU_CYCLE_2)
	s_trunc_f32 s27, s27
	s_wait_alu 0xfffe
	s_fmamk_f32 s2, s27, 0xcf800000, s2
	s_cvt_u32_f32 s29, s27
	s_wait_alu 0xfffe
	s_delay_alu instid0(SALU_CYCLE_1) | instskip(SKIP_1) | instid1(SALU_CYCLE_2)
	s_cvt_u32_f32 s28, s2
	s_wait_alu 0xfffe
	s_mul_u64 s[34:35], s[30:31], s[28:29]
	s_wait_alu 0xfffe
	s_mul_hi_u32 s37, s28, s35
	s_mul_i32 s36, s28, s35
	s_mul_hi_u32 s2, s28, s34
	s_mul_i32 s33, s29, s34
	s_wait_alu 0xfffe
	s_add_nc_u64 s[36:37], s[2:3], s[36:37]
	s_mul_hi_u32 s27, s29, s34
	s_mul_hi_u32 s38, s29, s35
	s_add_co_u32 s2, s36, s33
	s_wait_alu 0xfffe
	s_add_co_ci_u32 s2, s37, s27
	s_mul_i32 s34, s29, s35
	s_add_co_ci_u32 s35, s38, 0
	s_wait_alu 0xfffe
	s_add_nc_u64 s[34:35], s[2:3], s[34:35]
	s_wait_alu 0xfffe
	v_add_co_u32 v4, s2, s28, s34
	s_delay_alu instid0(VALU_DEP_1) | instskip(SKIP_1) | instid1(VALU_DEP_1)
	s_cmp_lg_u32 s2, 0
	s_add_co_ci_u32 s29, s29, s35
	v_readfirstlane_b32 s28, v4
	s_wait_alu 0xfffe
	s_delay_alu instid0(VALU_DEP_1)
	s_mul_u64 s[30:31], s[30:31], s[28:29]
	s_wait_alu 0xfffe
	s_mul_hi_u32 s35, s28, s31
	s_mul_i32 s34, s28, s31
	s_mul_hi_u32 s2, s28, s30
	s_mul_i32 s33, s29, s30
	s_wait_alu 0xfffe
	s_add_nc_u64 s[34:35], s[2:3], s[34:35]
	s_mul_hi_u32 s27, s29, s30
	s_mul_hi_u32 s28, s29, s31
	s_wait_alu 0xfffe
	s_add_co_u32 s2, s34, s33
	s_add_co_ci_u32 s2, s35, s27
	s_mul_i32 s30, s29, s31
	s_add_co_ci_u32 s31, s28, 0
	s_wait_alu 0xfffe
	s_add_nc_u64 s[30:31], s[2:3], s[30:31]
	s_wait_alu 0xfffe
	v_add_co_u32 v4, s2, v4, s30
	s_delay_alu instid0(VALU_DEP_1) | instskip(SKIP_1) | instid1(VALU_DEP_1)
	s_cmp_lg_u32 s2, 0
	s_add_co_ci_u32 s2, s29, s31
	v_mul_hi_u32 v13, v5, v4
	s_wait_alu 0xfffe
	v_mad_co_u64_u32 v[7:8], null, v5, s2, 0
	v_mad_co_u64_u32 v[9:10], null, v6, v4, 0
	;; [unrolled: 1-line block ×3, first 2 shown]
	s_delay_alu instid0(VALU_DEP_3) | instskip(SKIP_1) | instid1(VALU_DEP_4)
	v_add_co_u32 v4, vcc_lo, v13, v7
	s_wait_alu 0xfffd
	v_add_co_ci_u32_e32 v7, vcc_lo, 0, v8, vcc_lo
	s_delay_alu instid0(VALU_DEP_2) | instskip(SKIP_1) | instid1(VALU_DEP_2)
	v_add_co_u32 v4, vcc_lo, v4, v9
	s_wait_alu 0xfffd
	v_add_co_ci_u32_e32 v4, vcc_lo, v7, v10, vcc_lo
	s_wait_alu 0xfffd
	v_add_co_ci_u32_e32 v7, vcc_lo, 0, v12, vcc_lo
	s_delay_alu instid0(VALU_DEP_2) | instskip(SKIP_1) | instid1(VALU_DEP_2)
	v_add_co_u32 v4, vcc_lo, v4, v11
	s_wait_alu 0xfffd
	v_add_co_ci_u32_e32 v9, vcc_lo, 0, v7, vcc_lo
	s_delay_alu instid0(VALU_DEP_2) | instskip(SKIP_1) | instid1(VALU_DEP_3)
	v_mul_lo_u32 v10, s25, v4
	v_mad_co_u64_u32 v[7:8], null, s24, v4, 0
	v_mul_lo_u32 v11, s24, v9
	s_delay_alu instid0(VALU_DEP_2) | instskip(NEXT) | instid1(VALU_DEP_2)
	v_sub_co_u32 v7, vcc_lo, v5, v7
	v_add3_u32 v8, v8, v11, v10
	s_delay_alu instid0(VALU_DEP_1) | instskip(SKIP_1) | instid1(VALU_DEP_1)
	v_sub_nc_u32_e32 v10, v6, v8
	s_wait_alu 0xfffd
	v_subrev_co_ci_u32_e64 v10, s2, s25, v10, vcc_lo
	v_add_co_u32 v11, s2, v4, 2
	s_wait_alu 0xf1ff
	v_add_co_ci_u32_e64 v12, s2, 0, v9, s2
	v_sub_co_u32 v13, s2, v7, s24
	v_sub_co_ci_u32_e32 v8, vcc_lo, v6, v8, vcc_lo
	s_wait_alu 0xf1ff
	v_subrev_co_ci_u32_e64 v10, s2, 0, v10, s2
	s_delay_alu instid0(VALU_DEP_3) | instskip(NEXT) | instid1(VALU_DEP_3)
	v_cmp_le_u32_e32 vcc_lo, s24, v13
	v_cmp_eq_u32_e64 s2, s25, v8
	s_wait_alu 0xfffd
	v_cndmask_b32_e64 v13, 0, -1, vcc_lo
	v_cmp_le_u32_e32 vcc_lo, s25, v10
	s_wait_alu 0xfffd
	v_cndmask_b32_e64 v14, 0, -1, vcc_lo
	v_cmp_le_u32_e32 vcc_lo, s24, v7
	;; [unrolled: 3-line block ×3, first 2 shown]
	s_wait_alu 0xfffd
	v_cndmask_b32_e64 v15, 0, -1, vcc_lo
	v_cmp_eq_u32_e32 vcc_lo, s25, v10
	s_wait_alu 0xf1ff
	s_delay_alu instid0(VALU_DEP_2)
	v_cndmask_b32_e64 v7, v15, v7, s2
	s_wait_alu 0xfffd
	v_cndmask_b32_e32 v10, v14, v13, vcc_lo
	v_add_co_u32 v13, vcc_lo, v4, 1
	s_wait_alu 0xfffd
	v_add_co_ci_u32_e32 v14, vcc_lo, 0, v9, vcc_lo
	s_delay_alu instid0(VALU_DEP_3) | instskip(SKIP_1) | instid1(VALU_DEP_2)
	v_cmp_ne_u32_e32 vcc_lo, 0, v10
	s_wait_alu 0xfffd
	v_cndmask_b32_e32 v8, v14, v12, vcc_lo
	v_cndmask_b32_e32 v10, v13, v11, vcc_lo
	v_cmp_ne_u32_e32 vcc_lo, 0, v7
	s_wait_alu 0xfffd
	s_delay_alu instid0(VALU_DEP_2)
	v_dual_cndmask_b32 v81, v9, v8 :: v_dual_cndmask_b32 v80, v4, v10
.LBB0_4:                                ;   in Loop: Header=BB0_2 Depth=1
	s_wait_alu 0xfffe
	s_and_not1_saveexec_b32 s2, s26
	s_cbranch_execz .LBB0_6
; %bb.5:                                ;   in Loop: Header=BB0_2 Depth=1
	v_cvt_f32_u32_e32 v4, s24
	s_sub_co_i32 s26, 0, s24
	v_mov_b32_e32 v81, v3
	s_delay_alu instid0(VALU_DEP_2) | instskip(NEXT) | instid1(TRANS32_DEP_1)
	v_rcp_iflag_f32_e32 v4, v4
	v_mul_f32_e32 v4, 0x4f7ffffe, v4
	s_delay_alu instid0(VALU_DEP_1) | instskip(SKIP_1) | instid1(VALU_DEP_1)
	v_cvt_u32_f32_e32 v4, v4
	s_wait_alu 0xfffe
	v_mul_lo_u32 v7, s26, v4
	s_delay_alu instid0(VALU_DEP_1) | instskip(NEXT) | instid1(VALU_DEP_1)
	v_mul_hi_u32 v7, v4, v7
	v_add_nc_u32_e32 v4, v4, v7
	s_delay_alu instid0(VALU_DEP_1) | instskip(NEXT) | instid1(VALU_DEP_1)
	v_mul_hi_u32 v4, v5, v4
	v_mul_lo_u32 v7, v4, s24
	v_add_nc_u32_e32 v8, 1, v4
	s_delay_alu instid0(VALU_DEP_2) | instskip(NEXT) | instid1(VALU_DEP_1)
	v_sub_nc_u32_e32 v7, v5, v7
	v_subrev_nc_u32_e32 v9, s24, v7
	v_cmp_le_u32_e32 vcc_lo, s24, v7
	s_wait_alu 0xfffd
	s_delay_alu instid0(VALU_DEP_2) | instskip(NEXT) | instid1(VALU_DEP_1)
	v_dual_cndmask_b32 v7, v7, v9 :: v_dual_cndmask_b32 v4, v4, v8
	v_cmp_le_u32_e32 vcc_lo, s24, v7
	s_delay_alu instid0(VALU_DEP_2) | instskip(SKIP_1) | instid1(VALU_DEP_1)
	v_add_nc_u32_e32 v8, 1, v4
	s_wait_alu 0xfffd
	v_cndmask_b32_e32 v80, v4, v8, vcc_lo
.LBB0_6:                                ;   in Loop: Header=BB0_2 Depth=1
	s_wait_alu 0xfffe
	s_or_b32 exec_lo, exec_lo, s2
	v_mul_lo_u32 v4, v81, s24
	s_delay_alu instid0(VALU_DEP_2)
	v_mul_lo_u32 v9, v80, s25
	s_load_b64 s[26:27], s[18:19], 0x0
	v_mad_co_u64_u32 v[7:8], null, v80, s24, 0
	s_load_b64 s[24:25], s[16:17], 0x0
	s_add_nc_u64 s[20:21], s[20:21], 1
	s_add_nc_u64 s[16:17], s[16:17], 8
	s_wait_alu 0xfffe
	v_cmp_ge_u64_e64 s2, s[20:21], s[10:11]
	s_add_nc_u64 s[18:19], s[18:19], 8
	s_add_nc_u64 s[22:23], s[22:23], 8
	v_add3_u32 v4, v8, v9, v4
	v_sub_co_u32 v5, vcc_lo, v5, v7
	s_wait_alu 0xfffd
	s_delay_alu instid0(VALU_DEP_2) | instskip(SKIP_2) | instid1(VALU_DEP_1)
	v_sub_co_ci_u32_e32 v4, vcc_lo, v6, v4, vcc_lo
	s_and_b32 vcc_lo, exec_lo, s2
	s_wait_kmcnt 0x0
	v_mul_lo_u32 v6, s26, v4
	v_mul_lo_u32 v7, s27, v5
	v_mad_co_u64_u32 v[1:2], null, s26, v5, v[1:2]
	v_mul_lo_u32 v4, s24, v4
	v_mul_lo_u32 v8, s25, v5
	v_mad_co_u64_u32 v[76:77], null, s24, v5, v[76:77]
	s_delay_alu instid0(VALU_DEP_4) | instskip(NEXT) | instid1(VALU_DEP_2)
	v_add3_u32 v2, v7, v2, v6
	v_add3_u32 v77, v8, v77, v4
	s_wait_alu 0xfffe
	s_cbranch_vccnz .LBB0_9
; %bb.7:                                ;   in Loop: Header=BB0_2 Depth=1
	v_dual_mov_b32 v5, v80 :: v_dual_mov_b32 v6, v81
	s_branch .LBB0_2
.LBB0_8:
	v_dual_mov_b32 v77, v2 :: v_dual_mov_b32 v76, v1
	v_dual_mov_b32 v81, v6 :: v_dual_mov_b32 v80, v5
.LBB0_9:
	s_load_b64 s[0:1], s[0:1], 0x28
	v_mul_hi_u32 v3, 0x2828283, v0
                                        ; implicit-def: $vgpr78
	s_wait_kmcnt 0x0
	s_delay_alu instid0(VALU_DEP_2) | instskip(SKIP_1) | instid1(VALU_DEP_1)
	v_cmp_gt_u64_e32 vcc_lo, s[0:1], v[80:81]
	v_cmp_le_u64_e64 s0, s[0:1], v[80:81]
	s_and_saveexec_b32 s1, s0
	s_wait_alu 0xfffe
	s_xor_b32 s0, exec_lo, s1
; %bb.10:
	s_delay_alu instid0(VALU_DEP_3) | instskip(NEXT) | instid1(VALU_DEP_1)
	v_mul_u32_u24_e32 v1, 0x66, v3
                                        ; implicit-def: $vgpr3
	v_sub_nc_u32_e32 v78, v0, v1
                                        ; implicit-def: $vgpr0
                                        ; implicit-def: $vgpr1_vgpr2
; %bb.11:
	s_wait_alu 0xfffe
	s_or_saveexec_b32 s1, s0
	s_lshl_b64 s[50:51], s[10:11], 3
	s_wait_alu 0xfffe
	s_xor_b32 exec_lo, exec_lo, s1
	s_cbranch_execz .LBB0_13
; %bb.12:
	s_add_nc_u64 s[2:3], s[12:13], s[50:51]
	v_lshlrev_b64_e32 v[1:2], 4, v[1:2]
	s_load_b64 s[2:3], s[2:3], 0x0
	s_wait_kmcnt 0x0
	v_mul_lo_u32 v6, s3, v80
	v_mul_lo_u32 v7, s2, v81
	v_mad_co_u64_u32 v[4:5], null, s2, v80, 0
	s_delay_alu instid0(VALU_DEP_1) | instskip(SKIP_1) | instid1(VALU_DEP_2)
	v_add3_u32 v5, v5, v7, v6
	v_mul_u32_u24_e32 v6, 0x66, v3
	v_lshlrev_b64_e32 v[3:4], 4, v[4:5]
	s_delay_alu instid0(VALU_DEP_2) | instskip(NEXT) | instid1(VALU_DEP_1)
	v_sub_nc_u32_e32 v78, v0, v6
	v_lshlrev_b32_e32 v60, 4, v78
	s_delay_alu instid0(VALU_DEP_3) | instskip(SKIP_1) | instid1(VALU_DEP_4)
	v_add_co_u32 v0, s0, s4, v3
	s_wait_alu 0xf1ff
	v_add_co_ci_u32_e64 v3, s0, s5, v4, s0
	s_delay_alu instid0(VALU_DEP_2) | instskip(SKIP_1) | instid1(VALU_DEP_2)
	v_add_co_u32 v0, s0, v0, v1
	s_wait_alu 0xf1ff
	v_add_co_ci_u32_e64 v1, s0, v3, v2, s0
	s_delay_alu instid0(VALU_DEP_2) | instskip(SKIP_1) | instid1(VALU_DEP_2)
	v_add_co_u32 v56, s0, v0, v60
	s_wait_alu 0xf1ff
	v_add_co_ci_u32_e64 v57, s0, 0, v1, s0
	s_clause 0xe
	global_load_b128 v[0:3], v[56:57], off
	global_load_b128 v[4:7], v[56:57], off offset:1632
	global_load_b128 v[8:11], v[56:57], off offset:3264
	;; [unrolled: 1-line block ×14, first 2 shown]
	v_add_nc_u32_e32 v60, 0, v60
	s_wait_loadcnt 0xe
	ds_store_b128 v60, v[0:3]
	s_wait_loadcnt 0xd
	ds_store_b128 v60, v[4:7] offset:1632
	s_wait_loadcnt 0xc
	ds_store_b128 v60, v[8:11] offset:3264
	;; [unrolled: 2-line block ×14, first 2 shown]
.LBB0_13:
	s_or_b32 exec_lo, exec_lo, s1
	v_lshl_add_u32 v210, v78, 4, 0
	global_wb scope:SCOPE_SE
	s_wait_dscnt 0x0
	s_barrier_signal -1
	s_barrier_wait -1
	global_inv scope:SCOPE_SE
	ds_load_b128 v[8:11], v210 offset:23040
	ds_load_b128 v[28:31], v210 offset:1440
	ds_load_b128 v[12:15], v210
	ds_load_b128 v[16:19], v210 offset:21600
	ds_load_b128 v[32:35], v210 offset:2880
	s_mov_b32 s12, 0x5d8e7cdc
	s_mov_b32 s2, 0x370991
	;; [unrolled: 1-line block ×8, first 2 shown]
	ds_load_b128 v[36:39], v210 offset:4320
	ds_load_b128 v[20:23], v210 offset:20160
	s_mov_b32 s36, 0xeb564b22
	s_mov_b32 s16, 0x3259b75e
	;; [unrolled: 1-line block ×4, first 2 shown]
	ds_load_b128 v[24:27], v210 offset:18720
	ds_load_b128 v[48:51], v210 offset:5760
	s_mov_b32 s30, 0x7c9e640b
	s_mov_b32 s20, 0x2b2883cd
	;; [unrolled: 1-line block ×3, first 2 shown]
	s_wait_dscnt 0x7
	v_add_f64_e64 v[144:145], v[30:31], -v[10:11]
	v_add_f64_e32 v[148:149], v[30:31], v[10:11]
	s_wait_dscnt 0x4
	v_add_f64_e64 v[84:85], v[34:35], -v[18:19]
	v_add_f64_e32 v[82:83], v[34:35], v[18:19]
	v_add_f64_e32 v[140:141], v[28:29], v[8:9]
	v_add_f64_e64 v[152:153], v[28:29], -v[8:9]
	v_add_f64_e32 v[88:89], v[32:33], v[16:17]
	v_add_f64_e64 v[114:115], v[32:33], -v[16:17]
	s_mov_b32 s28, 0x6c9a05f6
	s_mov_b32 s31, 0xbfeca52d
	;; [unrolled: 1-line block ×3, first 2 shown]
	s_wait_dscnt 0x2
	v_add_f64_e64 v[110:111], v[38:39], -v[22:23]
	v_add_f64_e32 v[86:87], v[38:39], v[22:23]
	s_mov_b32 s19, 0xbfe348c8
	s_mov_b32 s29, 0xbfe9895b
	v_add_f64_e32 v[90:91], v[36:37], v[20:21]
	v_add_f64_e64 v[118:119], v[36:37], -v[20:21]
	s_wait_dscnt 0x0
	v_add_f64_e64 v[116:117], v[50:51], -v[26:27]
	v_add_f64_e32 v[92:93], v[50:51], v[26:27]
	ds_load_b128 v[52:55], v210 offset:7200
	ds_load_b128 v[40:43], v210 offset:17280
	s_mov_b32 s22, 0x7faef3
	s_mov_b32 s23, 0xbfef7484
	;; [unrolled: 1-line block ×4, first 2 shown]
	v_add_f64_e32 v[94:95], v[48:49], v[24:25]
	v_add_f64_e64 v[122:123], v[48:49], -v[24:25]
	s_mov_b32 s26, 0xc61f0d01
	s_mov_b32 s48, 0x923c349f
	;; [unrolled: 1-line block ×12, first 2 shown]
	v_mul_f64_e32 v[146:147], s[12:13], v[144:145]
	s_wait_alu 0xfffe
	v_mul_f64_e32 v[154:155], s[2:3], v[148:149]
	v_mul_f64_e32 v[206:207], s[10:11], v[144:145]
	;; [unrolled: 1-line block ×7, first 2 shown]
	s_wait_dscnt 0x0
	v_add_f64_e64 v[120:121], v[54:55], -v[42:43]
	v_add_f64_e32 v[96:97], v[54:55], v[42:43]
	v_add_f64_e32 v[98:99], v[52:53], v[40:41]
	v_mul_f64_e32 v[166:167], s[30:31], v[110:111]
	v_mul_f64_e32 v[168:169], s[20:21], v[86:87]
	;; [unrolled: 1-line block ×4, first 2 shown]
	v_add_f64_e64 v[126:127], v[52:53], -v[40:41]
	s_mov_b32 s40, s42
	v_mul_f64_e32 v[176:177], s[36:37], v[116:117]
	v_mul_f64_e32 v[180:181], s[16:17], v[92:93]
	;; [unrolled: 1-line block ×4, first 2 shown]
	s_mov_b32 s34, s30
	s_mov_b32 s47, 0x3fd71e95
	;; [unrolled: 1-line block ×3, first 2 shown]
	s_add_nc_u64 s[14:15], s[14:15], s[50:51]
	s_mov_b32 s33, exec_lo
	v_fma_f64 v[0:1], v[140:141], s[2:3], -v[146:147]
	v_fma_f64 v[2:3], v[152:153], s[12:13], v[154:155]
	v_fma_f64 v[4:5], v[140:141], s[4:5], -v[206:207]
	v_fma_f64 v[6:7], v[152:153], s[10:11], v[208:209]
	;; [unrolled: 2-line block ×4, first 2 shown]
	v_mul_f64_e32 v[184:185], s[48:49], v[120:121]
	v_mul_f64_e32 v[186:187], s[26:27], v[96:97]
	;; [unrolled: 1-line block ×3, first 2 shown]
	v_fma_f64 v[68:69], v[90:91], s[20:21], -v[166:167]
	v_fma_f64 v[70:71], v[118:119], s[30:31], v[168:169]
	v_fma_f64 v[72:73], v[90:91], s[18:19], -v[150:151]
	v_fma_f64 v[74:75], v[118:119], s[28:29], v[156:157]
	v_mul_f64_e32 v[172:173], s[24:25], v[96:97]
	v_fma_f64 v[106:107], v[94:95], s[16:17], -v[176:177]
	v_fma_f64 v[108:109], v[122:123], s[36:37], v[180:181]
	v_fma_f64 v[112:113], v[94:95], s[22:23], -v[162:163]
	v_fma_f64 v[130:131], v[122:123], s[44:45], v[164:165]
	v_add_f64_e32 v[0:1], v[12:13], v[0:1]
	v_add_f64_e32 v[2:3], v[14:15], v[2:3]
	;; [unrolled: 1-line block ×4, first 2 shown]
	v_fma_f64 v[134:135], v[98:99], s[26:27], -v[184:185]
	v_fma_f64 v[190:191], v[126:127], s[48:49], v[186:187]
	v_fma_f64 v[192:193], v[98:99], s[24:25], -v[170:171]
	v_fma_f64 v[202:203], v[126:127], s[42:43], v[172:173]
	v_add_f64_e32 v[0:1], v[44:45], v[0:1]
	v_add_f64_e32 v[2:3], v[46:47], v[2:3]
	;; [unrolled: 1-line block ×4, first 2 shown]
	ds_load_b128 v[44:47], v210 offset:15840
	ds_load_b128 v[60:63], v210 offset:8640
	;; [unrolled: 1-line block ×4, first 2 shown]
	s_wait_dscnt 0x2
	v_add_f64_e64 v[124:125], v[62:63], -v[46:47]
	v_add_f64_e32 v[100:101], v[62:63], v[46:47]
	v_add_f64_e32 v[102:103], v[60:61], v[44:45]
	v_add_f64_e64 v[128:129], v[60:61], -v[44:45]
	s_wait_dscnt 0x0
	v_add_f64_e64 v[132:133], v[66:67], -v[58:59]
	v_add_f64_e32 v[104:105], v[66:67], v[58:59]
	v_add_f64_e64 v[136:137], v[64:65], -v[56:57]
	v_add_f64_e32 v[0:1], v[68:69], v[0:1]
	v_add_f64_e32 v[2:3], v[70:71], v[2:3]
	;; [unrolled: 1-line block ×4, first 2 shown]
	ds_load_b128 v[72:75], v210 offset:11520
	ds_load_b128 v[68:71], v210 offset:12960
	global_wb scope:SCOPE_SE
	s_wait_dscnt 0x0
	s_barrier_signal -1
	s_barrier_wait -1
	global_inv scope:SCOPE_SE
	v_mul_f64_e32 v[194:195], s[28:29], v[124:125]
	v_mul_f64_e32 v[196:197], s[18:19], v[100:101]
	;; [unrolled: 1-line block ×6, first 2 shown]
	s_wait_alu 0xfffe
	v_mul_f64_e32 v[182:183], s[34:35], v[132:133]
	v_mul_f64_e32 v[188:189], s[20:21], v[104:105]
	v_add_f64_e32 v[0:1], v[106:107], v[0:1]
	v_add_f64_e32 v[2:3], v[108:109], v[2:3]
	;; [unrolled: 1-line block ×5, first 2 shown]
	v_add_f64_e64 v[130:131], v[74:75], -v[70:71]
	v_add_f64_e32 v[108:109], v[74:75], v[70:71]
	v_add_f64_e32 v[112:113], v[72:73], v[68:69]
	v_fma_f64 v[211:212], v[102:103], s[18:19], -v[194:195]
	v_fma_f64 v[213:214], v[128:129], s[28:29], v[196:197]
	v_fma_f64 v[215:216], v[102:103], s[26:27], -v[174:175]
	v_fma_f64 v[217:218], v[128:129], s[38:39], v[178:179]
	v_fma_f64 v[221:222], v[136:137], s[40:41], v[200:201]
	;; [unrolled: 1-line block ×3, first 2 shown]
	v_add_f64_e32 v[0:1], v[134:135], v[0:1]
	v_add_f64_e32 v[2:3], v[190:191], v[2:3]
	;; [unrolled: 1-line block ×4, first 2 shown]
	v_add_f64_e64 v[134:135], v[72:73], -v[68:69]
	v_mul_f64_e32 v[202:203], s[44:45], v[130:131]
	v_mul_f64_e32 v[204:205], s[22:23], v[108:109]
	;; [unrolled: 1-line block ×4, first 2 shown]
	v_fma_f64 v[219:220], v[106:107], s[24:25], -v[198:199]
	v_fma_f64 v[223:224], v[106:107], s[20:21], -v[182:183]
	v_add_f64_e32 v[0:1], v[211:212], v[0:1]
	v_add_f64_e32 v[2:3], v[213:214], v[2:3]
	;; [unrolled: 1-line block ×4, first 2 shown]
	v_fma_f64 v[211:212], v[112:113], s[22:23], -v[202:203]
	v_fma_f64 v[213:214], v[134:135], s[44:45], v[204:205]
	v_fma_f64 v[215:216], v[112:113], s[2:3], -v[190:191]
	v_fma_f64 v[217:218], v[134:135], s[46:47], v[192:193]
	v_add_f64_e32 v[0:1], v[219:220], v[0:1]
	v_add_f64_e32 v[2:3], v[221:222], v[2:3]
	;; [unrolled: 1-line block ×4, first 2 shown]
	s_delay_alu instid0(VALU_DEP_4) | instskip(NEXT) | instid1(VALU_DEP_4)
	v_add_f64_e32 v[4:5], v[211:212], v[0:1]
	v_add_f64_e32 v[6:7], v[213:214], v[2:3]
	s_delay_alu instid0(VALU_DEP_4) | instskip(NEXT) | instid1(VALU_DEP_4)
	v_add_f64_e32 v[0:1], v[215:216], v[219:220]
	v_add_f64_e32 v[2:3], v[217:218], v[221:222]
	v_cmpx_gt_u32_e32 0x5a, v78
	s_cbranch_execz .LBB0_15
; %bb.14:
	v_add_f64_e32 v[28:29], v[12:13], v[28:29]
	v_add_f64_e32 v[30:31], v[14:15], v[30:31]
	s_mov_b32 s51, 0x3fe58eea
	s_mov_b32 s50, s10
	;; [unrolled: 1-line block ×5, first 2 shown]
	s_wait_alu 0xfffe
	v_mul_f64_e32 v[213:214], s[0:1], v[134:135]
	v_mul_f64_e32 v[215:216], s[0:1], v[130:131]
	s_mov_b32 s52, s28
	v_mul_f64_e32 v[217:218], s[28:29], v[134:135]
	v_mul_f64_e32 v[219:220], s[28:29], v[130:131]
	v_add_f64_e32 v[28:29], v[28:29], v[32:33]
	v_add_f64_e32 v[30:31], v[30:31], v[34:35]
	v_mul_f64_e32 v[32:33], s[36:37], v[152:153]
	s_delay_alu instid0(VALU_DEP_3) | instskip(NEXT) | instid1(VALU_DEP_3)
	v_add_f64_e32 v[28:29], v[28:29], v[36:37]
	v_add_f64_e32 v[30:31], v[30:31], v[38:39]
	v_mul_f64_e32 v[36:37], s[30:31], v[152:153]
	s_delay_alu instid0(VALU_DEP_4)
	v_fma_f64 v[34:35], v[148:149], s[16:17], v[32:33]
	v_fma_f64 v[32:33], v[148:149], s[16:17], -v[32:33]
	v_add_f64_e32 v[28:29], v[28:29], v[48:49]
	v_add_f64_e32 v[30:31], v[30:31], v[50:51]
	v_mul_f64_e32 v[48:49], s[40:41], v[144:145]
	v_mul_f64_e32 v[50:51], s[28:29], v[144:145]
	v_fma_f64 v[38:39], v[148:149], s[20:21], v[36:37]
	v_fma_f64 v[36:37], v[148:149], s[20:21], -v[36:37]
	v_add_f64_e32 v[28:29], v[28:29], v[52:53]
	v_add_f64_e32 v[30:31], v[30:31], v[54:55]
	v_mul_f64_e32 v[52:53], s[48:49], v[144:145]
	v_mul_f64_e32 v[54:55], s[36:37], v[144:145]
	v_add_f64_e32 v[36:37], v[14:15], v[36:37]
	v_add_f64_e32 v[28:29], v[28:29], v[60:61]
	;; [unrolled: 1-line block ×3, first 2 shown]
	v_fma_f64 v[60:61], v[140:141], s[24:25], -v[48:49]
	v_fma_f64 v[48:49], v[140:141], s[24:25], v[48:49]
	v_fma_f64 v[62:63], v[140:141], s[18:19], -v[50:51]
	v_fma_f64 v[50:51], v[140:141], s[18:19], v[50:51]
	v_add_f64_e32 v[28:29], v[28:29], v[64:65]
	v_add_f64_e32 v[30:31], v[30:31], v[66:67]
	v_fma_f64 v[64:65], v[140:141], s[26:27], -v[52:53]
	v_fma_f64 v[52:53], v[140:141], s[26:27], v[52:53]
	v_fma_f64 v[66:67], v[140:141], s[16:17], -v[54:55]
	v_fma_f64 v[54:55], v[140:141], s[16:17], v[54:55]
	v_add_f64_e32 v[60:61], v[12:13], v[60:61]
	v_add_f64_e32 v[48:49], v[12:13], v[48:49]
	v_add_f64_e32 v[62:63], v[12:13], v[62:63]
	v_add_f64_e32 v[50:51], v[12:13], v[50:51]
	v_add_f64_e32 v[28:29], v[28:29], v[72:73]
	v_add_f64_e32 v[30:31], v[30:31], v[74:75]
	v_add_f64_e32 v[64:65], v[12:13], v[64:65]
	v_add_f64_e32 v[52:53], v[12:13], v[52:53]
	v_add_f64_e32 v[66:67], v[12:13], v[66:67]
	v_add_f64_e32 v[54:55], v[12:13], v[54:55]
	v_add_f64_e32 v[28:29], v[28:29], v[68:69]
	v_add_f64_e32 v[30:31], v[30:31], v[70:71]
	v_mul_f64_e32 v[70:71], s[2:3], v[140:141]
	s_delay_alu instid0(VALU_DEP_3) | instskip(NEXT) | instid1(VALU_DEP_3)
	v_add_f64_e32 v[28:29], v[28:29], v[56:57]
	v_add_f64_e32 v[30:31], v[30:31], v[58:59]
	v_mul_f64_e32 v[56:57], s[30:31], v[144:145]
	s_delay_alu instid0(VALU_DEP_4) | instskip(NEXT) | instid1(VALU_DEP_4)
	v_add_f64_e32 v[70:71], v[70:71], v[146:147]
	v_add_f64_e32 v[28:29], v[28:29], v[44:45]
	s_delay_alu instid0(VALU_DEP_4)
	v_add_f64_e32 v[30:31], v[30:31], v[46:47]
	v_mul_f64_e32 v[46:47], s[44:45], v[144:145]
	v_mul_f64_e32 v[44:45], s[12:13], v[152:153]
	v_fma_f64 v[68:69], v[140:141], s[20:21], -v[56:57]
	v_fma_f64 v[56:57], v[140:141], s[20:21], v[56:57]
	v_add_f64_e32 v[28:29], v[28:29], v[40:41]
	v_add_f64_e32 v[30:31], v[30:31], v[42:43]
	v_mul_f64_e32 v[42:43], s[4:5], v[140:141]
	v_fma_f64 v[58:59], v[140:141], s[22:23], -v[46:47]
	v_fma_f64 v[46:47], v[140:141], s[22:23], v[46:47]
	v_mul_f64_e32 v[40:41], s[10:11], v[152:153]
	v_add_f64_e64 v[44:45], v[154:155], -v[44:45]
	v_add_f64_e32 v[154:155], v[14:15], v[38:39]
	v_add_f64_e32 v[68:69], v[12:13], v[68:69]
	v_add_f64_e32 v[38:39], v[12:13], v[56:57]
	v_add_f64_e32 v[24:25], v[28:29], v[24:25]
	v_add_f64_e32 v[26:27], v[30:31], v[26:27]
	v_mul_f64_e32 v[28:29], s[48:49], v[152:153]
	v_add_f64_e32 v[42:43], v[42:43], v[206:207]
	v_add_f64_e32 v[58:59], v[12:13], v[58:59]
	;; [unrolled: 1-line block ×3, first 2 shown]
	v_add_f64_e64 v[40:41], v[208:209], -v[40:41]
	v_add_f64_e32 v[20:21], v[24:25], v[20:21]
	v_add_f64_e32 v[22:23], v[26:27], v[22:23]
	v_mul_f64_e32 v[24:25], s[28:29], v[152:153]
	v_fma_f64 v[30:31], v[148:149], s[26:27], v[28:29]
	v_fma_f64 v[28:29], v[148:149], s[26:27], -v[28:29]
	v_add_f64_e32 v[16:17], v[20:21], v[16:17]
	v_mul_f64_e32 v[20:21], s[40:41], v[152:153]
	v_add_f64_e32 v[18:19], v[22:23], v[18:19]
	v_fma_f64 v[26:27], v[148:149], s[18:19], v[24:25]
	v_fma_f64 v[24:25], v[148:149], s[18:19], -v[24:25]
	v_add_f64_e32 v[144:145], v[14:15], v[30:31]
	v_add_f64_e32 v[30:31], v[12:13], v[70:71]
	;; [unrolled: 1-line block ×5, first 2 shown]
	v_mul_f64_e32 v[16:17], s[44:45], v[152:153]
	v_fma_f64 v[22:23], v[148:149], s[24:25], v[20:21]
	v_fma_f64 v[20:21], v[148:149], s[24:25], -v[20:21]
	v_add_f64_e32 v[10:11], v[18:19], v[10:11]
	v_add_f64_e32 v[140:141], v[14:15], v[24:25]
	v_mul_f64_e32 v[24:25], s[40:41], v[118:119]
	v_add_f64_e32 v[74:75], v[14:15], v[26:27]
	v_add_f64_e32 v[152:153], v[14:15], v[32:33]
	;; [unrolled: 1-line block ×3, first 2 shown]
	v_fma_f64 v[18:19], v[148:149], s[22:23], v[16:17]
	v_fma_f64 v[16:17], v[148:149], s[22:23], -v[16:17]
	v_add_f64_e32 v[72:73], v[14:15], v[20:21]
	v_mul_f64_e32 v[20:21], s[46:47], v[114:115]
	v_add_f64_e32 v[148:149], v[14:15], v[34:35]
	v_add_f64_e32 v[34:35], v[12:13], v[42:43]
	v_fma_f64 v[26:27], v[86:87], s[24:25], v[24:25]
	v_add_f64_e32 v[22:23], v[14:15], v[22:23]
	v_add_f64_e32 v[18:19], v[14:15], v[18:19]
	;; [unrolled: 1-line block ×3, first 2 shown]
	v_fma_f64 v[12:13], v[82:83], s[2:3], v[20:21]
	v_fma_f64 v[20:21], v[82:83], s[2:3], -v[20:21]
	s_delay_alu instid0(VALU_DEP_2) | instskip(SKIP_1) | instid1(VALU_DEP_3)
	v_add_f64_e32 v[12:13], v[12:13], v[18:19]
	v_mul_f64_e32 v[18:19], s[46:47], v[84:85]
	v_add_f64_e32 v[16:17], v[20:21], v[16:17]
	v_fma_f64 v[20:21], v[86:87], s[24:25], -v[24:25]
	v_fma_f64 v[24:25], v[112:113], s[16:17], v[215:216]
	v_add_f64_e32 v[12:13], v[26:27], v[12:13]
	v_fma_f64 v[14:15], v[88:89], s[2:3], -v[18:19]
	v_mul_f64_e32 v[26:27], s[40:41], v[110:111]
	v_fma_f64 v[18:19], v[88:89], s[2:3], v[18:19]
	v_add_f64_e32 v[16:17], v[20:21], v[16:17]
	s_delay_alu instid0(VALU_DEP_4) | instskip(NEXT) | instid1(VALU_DEP_4)
	v_add_f64_e32 v[14:15], v[14:15], v[58:59]
	v_fma_f64 v[40:41], v[90:91], s[24:25], -v[26:27]
	s_delay_alu instid0(VALU_DEP_4) | instskip(SKIP_2) | instid1(VALU_DEP_4)
	v_add_f64_e32 v[18:19], v[18:19], v[46:47]
	v_fma_f64 v[20:21], v[90:91], s[24:25], v[26:27]
	v_mul_f64_e32 v[26:27], s[34:35], v[84:85]
	v_add_f64_e32 v[14:15], v[40:41], v[14:15]
	v_mul_f64_e32 v[40:41], s[50:51], v[122:123]
	s_delay_alu instid0(VALU_DEP_4) | instskip(NEXT) | instid1(VALU_DEP_2)
	v_add_f64_e32 v[18:19], v[20:21], v[18:19]
	v_fma_f64 v[42:43], v[92:93], s[4:5], v[40:41]
	v_fma_f64 v[20:21], v[92:93], s[4:5], -v[40:41]
	v_mul_f64_e32 v[40:41], s[36:37], v[118:119]
	s_delay_alu instid0(VALU_DEP_3) | instskip(SKIP_1) | instid1(VALU_DEP_4)
	v_add_f64_e32 v[12:13], v[42:43], v[12:13]
	v_mul_f64_e32 v[42:43], s[50:51], v[116:117]
	v_add_f64_e32 v[16:17], v[20:21], v[16:17]
	s_delay_alu instid0(VALU_DEP_2) | instskip(SKIP_3) | instid1(VALU_DEP_4)
	v_fma_f64 v[44:45], v[94:95], s[4:5], -v[42:43]
	v_fma_f64 v[20:21], v[94:95], s[4:5], v[42:43]
	v_fma_f64 v[42:43], v[86:87], s[16:17], v[40:41]
	v_fma_f64 v[40:41], v[86:87], s[16:17], -v[40:41]
	v_add_f64_e32 v[14:15], v[44:45], v[14:15]
	v_mul_f64_e32 v[44:45], s[28:29], v[126:127]
	v_add_f64_e32 v[18:19], v[20:21], v[18:19]
	s_delay_alu instid0(VALU_DEP_2) | instskip(SKIP_1) | instid1(VALU_DEP_2)
	v_fma_f64 v[56:57], v[96:97], s[18:19], v[44:45]
	v_fma_f64 v[20:21], v[96:97], s[18:19], -v[44:45]
	v_add_f64_e32 v[12:13], v[56:57], v[12:13]
	v_mul_f64_e32 v[56:57], s[28:29], v[120:121]
	s_delay_alu instid0(VALU_DEP_3) | instskip(NEXT) | instid1(VALU_DEP_2)
	v_add_f64_e32 v[16:17], v[20:21], v[16:17]
	v_fma_f64 v[58:59], v[98:99], s[18:19], -v[56:57]
	v_fma_f64 v[20:21], v[98:99], s[18:19], v[56:57]
	s_delay_alu instid0(VALU_DEP_2) | instskip(SKIP_1) | instid1(VALU_DEP_3)
	v_add_f64_e32 v[14:15], v[58:59], v[14:15]
	v_mul_f64_e32 v[58:59], s[34:35], v[128:129]
	v_add_f64_e32 v[18:19], v[20:21], v[18:19]
	s_delay_alu instid0(VALU_DEP_2) | instskip(SKIP_1) | instid1(VALU_DEP_2)
	v_fma_f64 v[70:71], v[100:101], s[20:21], v[58:59]
	v_fma_f64 v[20:21], v[100:101], s[20:21], -v[58:59]
	v_add_f64_e32 v[12:13], v[70:71], v[12:13]
	v_mul_f64_e32 v[70:71], s[34:35], v[124:125]
	s_delay_alu instid0(VALU_DEP_3) | instskip(NEXT) | instid1(VALU_DEP_2)
	v_add_f64_e32 v[16:17], v[20:21], v[16:17]
	v_fma_f64 v[206:207], v[102:103], s[20:21], -v[70:71]
	v_fma_f64 v[20:21], v[102:103], s[20:21], v[70:71]
	s_delay_alu instid0(VALU_DEP_2) | instskip(SKIP_1) | instid1(VALU_DEP_3)
	v_add_f64_e32 v[14:15], v[206:207], v[14:15]
	v_mul_f64_e32 v[206:207], s[48:49], v[136:137]
	v_add_f64_e32 v[18:19], v[20:21], v[18:19]
	s_delay_alu instid0(VALU_DEP_2) | instskip(SKIP_1) | instid1(VALU_DEP_2)
	v_fma_f64 v[208:209], v[104:105], s[26:27], v[206:207]
	v_fma_f64 v[20:21], v[104:105], s[26:27], -v[206:207]
	v_add_f64_e32 v[12:13], v[208:209], v[12:13]
	v_mul_f64_e32 v[208:209], s[48:49], v[132:133]
	s_delay_alu instid0(VALU_DEP_3) | instskip(NEXT) | instid1(VALU_DEP_2)
	v_add_f64_e32 v[16:17], v[20:21], v[16:17]
	v_fma_f64 v[20:21], v[106:107], s[26:27], v[208:209]
	v_fma_f64 v[211:212], v[106:107], s[26:27], -v[208:209]
	s_delay_alu instid0(VALU_DEP_2) | instskip(SKIP_1) | instid1(VALU_DEP_3)
	v_add_f64_e32 v[20:21], v[20:21], v[18:19]
	v_fma_f64 v[18:19], v[108:109], s[16:17], -v[213:214]
	v_add_f64_e32 v[211:212], v[211:212], v[14:15]
	v_fma_f64 v[14:15], v[108:109], s[16:17], v[213:214]
	v_mul_f64_e32 v[213:214], s[48:49], v[134:135]
	s_delay_alu instid0(VALU_DEP_4)
	v_add_f64_e32 v[18:19], v[18:19], v[16:17]
	v_add_f64_e32 v[16:17], v[24:25], v[20:21]
	v_mul_f64_e32 v[24:25], s[34:35], v[114:115]
	v_add_f64_e32 v[14:15], v[14:15], v[12:13]
	v_fma_f64 v[12:13], v[112:113], s[16:17], -v[215:216]
	v_mul_f64_e32 v[215:216], s[48:49], v[130:131]
	s_delay_alu instid0(VALU_DEP_4) | instskip(SKIP_1) | instid1(VALU_DEP_4)
	v_fma_f64 v[20:21], v[82:83], s[20:21], v[24:25]
	v_fma_f64 v[24:25], v[82:83], s[20:21], -v[24:25]
	v_add_f64_e32 v[12:13], v[12:13], v[211:212]
	s_delay_alu instid0(VALU_DEP_3) | instskip(SKIP_1) | instid1(VALU_DEP_4)
	v_add_f64_e32 v[20:21], v[20:21], v[22:23]
	v_fma_f64 v[22:23], v[88:89], s[20:21], -v[26:27]
	v_add_f64_e32 v[24:25], v[24:25], v[72:73]
	v_fma_f64 v[26:27], v[88:89], s[20:21], v[26:27]
	v_mul_f64_e32 v[72:73], s[28:29], v[84:85]
	v_add_f64_e32 v[20:21], v[42:43], v[20:21]
	v_mul_f64_e32 v[42:43], s[36:37], v[110:111]
	v_add_f64_e32 v[22:23], v[22:23], v[60:61]
	v_add_f64_e32 v[26:27], v[26:27], v[48:49]
	;; [unrolled: 1-line block ×3, first 2 shown]
	v_mul_f64_e32 v[48:49], s[20:21], v[90:91]
	v_fma_f64 v[44:45], v[90:91], s[16:17], -v[42:43]
	v_fma_f64 v[40:41], v[90:91], s[16:17], v[42:43]
	v_fma_f64 v[42:43], v[112:113], s[26:27], v[215:216]
	s_delay_alu instid0(VALU_DEP_4) | instskip(SKIP_4) | instid1(VALU_DEP_2)
	v_add_f64_e32 v[48:49], v[48:49], v[166:167]
	v_mul_f64_e32 v[166:167], s[50:51], v[120:121]
	v_add_f64_e32 v[22:23], v[44:45], v[22:23]
	v_mul_f64_e32 v[44:45], s[52:53], v[122:123]
	v_add_f64_e32 v[26:27], v[40:41], v[26:27]
	v_fma_f64 v[46:47], v[92:93], s[18:19], v[44:45]
	v_fma_f64 v[40:41], v[92:93], s[18:19], -v[44:45]
	v_mul_f64_e32 v[44:45], s[10:11], v[114:115]
	s_delay_alu instid0(VALU_DEP_3) | instskip(SKIP_1) | instid1(VALU_DEP_4)
	v_add_f64_e32 v[20:21], v[46:47], v[20:21]
	v_mul_f64_e32 v[46:47], s[52:53], v[116:117]
	v_add_f64_e32 v[24:25], v[40:41], v[24:25]
	s_delay_alu instid0(VALU_DEP_4) | instskip(SKIP_1) | instid1(VALU_DEP_4)
	v_add_f64_e64 v[44:45], v[160:161], -v[44:45]
	v_mul_f64_e32 v[160:161], s[38:39], v[122:123]
	v_fma_f64 v[56:57], v[94:95], s[18:19], -v[46:47]
	v_fma_f64 v[40:41], v[94:95], s[18:19], v[46:47]
	v_mul_f64_e32 v[46:47], s[16:17], v[94:95]
	v_add_f64_e32 v[28:29], v[44:45], v[28:29]
	v_mul_f64_e32 v[44:45], s[18:19], v[102:103]
	v_add_f64_e32 v[22:23], v[56:57], v[22:23]
	;; [unrolled: 2-line block ×3, first 2 shown]
	v_add_f64_e32 v[46:47], v[46:47], v[176:177]
	v_add_f64_e32 v[44:45], v[44:45], v[194:195]
	v_mul_f64_e32 v[176:177], s[40:41], v[134:135]
	v_mul_f64_e32 v[194:195], s[52:53], v[136:137]
	v_fma_f64 v[58:59], v[96:97], s[2:3], v[56:57]
	v_fma_f64 v[40:41], v[96:97], s[2:3], -v[56:57]
	v_mul_f64_e32 v[56:57], s[4:5], v[88:89]
	s_delay_alu instid0(VALU_DEP_3) | instskip(SKIP_1) | instid1(VALU_DEP_4)
	v_add_f64_e32 v[20:21], v[58:59], v[20:21]
	v_mul_f64_e32 v[58:59], s[12:13], v[120:121]
	v_add_f64_e32 v[24:25], v[40:41], v[24:25]
	s_delay_alu instid0(VALU_DEP_4) | instskip(NEXT) | instid1(VALU_DEP_3)
	v_add_f64_e32 v[56:57], v[56:57], v[158:159]
	v_fma_f64 v[60:61], v[98:99], s[2:3], -v[58:59]
	v_fma_f64 v[40:41], v[98:99], s[2:3], v[58:59]
	s_delay_alu instid0(VALU_DEP_3)
	v_add_f64_e32 v[30:31], v[56:57], v[30:31]
	v_mul_f64_e32 v[58:59], s[48:49], v[126:127]
	v_mul_f64_e32 v[56:57], s[16:17], v[88:89]
	v_add_f64_e32 v[22:23], v[60:61], v[22:23]
	v_mul_f64_e32 v[60:61], s[44:45], v[128:129]
	v_add_f64_e32 v[26:27], v[40:41], v[26:27]
	v_add_f64_e32 v[30:31], v[48:49], v[30:31]
	v_add_f64_e64 v[58:59], v[186:187], -v[58:59]
	v_mul_f64_e32 v[48:49], s[18:19], v[90:91]
	v_add_f64_e32 v[56:57], v[56:57], v[138:139]
	v_mul_f64_e32 v[138:139], s[44:45], v[84:85]
	v_mul_f64_e32 v[186:187], s[30:31], v[126:127]
	v_fma_f64 v[70:71], v[100:101], s[22:23], v[60:61]
	v_fma_f64 v[40:41], v[100:101], s[22:23], -v[60:61]
	v_mul_f64_e32 v[60:61], s[26:27], v[98:99]
	v_add_f64_e32 v[30:31], v[46:47], v[30:31]
	v_mul_f64_e32 v[46:47], s[44:45], v[134:135]
	v_add_f64_e32 v[48:49], v[48:49], v[150:151]
	v_add_f64_e32 v[34:35], v[56:57], v[34:35]
	v_mul_f64_e32 v[56:57], s[44:45], v[136:137]
	v_mul_f64_e32 v[150:151], s[44:45], v[120:121]
	v_add_f64_e32 v[20:21], v[70:71], v[20:21]
	v_mul_f64_e32 v[70:71], s[44:45], v[124:125]
	v_add_f64_e32 v[24:25], v[40:41], v[24:25]
	v_add_f64_e32 v[60:61], v[60:61], v[184:185]
	v_add_f64_e64 v[46:47], v[204:205], -v[46:47]
	v_mul_f64_e32 v[184:185], s[46:47], v[116:117]
	v_add_f64_e32 v[34:35], v[48:49], v[34:35]
	v_mul_f64_e32 v[204:205], s[50:51], v[118:119]
	v_fma_f64 v[206:207], v[102:103], s[22:23], -v[70:71]
	v_fma_f64 v[40:41], v[102:103], s[22:23], v[70:71]
	v_mul_f64_e32 v[70:71], s[28:29], v[128:129]
	v_add_f64_e32 v[30:31], v[60:61], v[30:31]
	v_mul_f64_e32 v[60:61], s[24:25], v[98:99]
	v_fma_f64 v[48:49], v[86:87], s[4:5], -v[204:205]
	v_add_f64_e32 v[22:23], v[206:207], v[22:23]
	v_mul_f64_e32 v[206:207], s[50:51], v[136:137]
	v_add_f64_e32 v[26:27], v[40:41], v[26:27]
	v_add_f64_e64 v[70:71], v[196:197], -v[70:71]
	v_add_f64_e32 v[30:31], v[44:45], v[30:31]
	v_mul_f64_e32 v[44:45], s[22:23], v[112:113]
	v_add_f64_e32 v[60:61], v[60:61], v[170:171]
	v_mul_f64_e32 v[170:171], s[12:13], v[124:125]
	v_mul_f64_e32 v[196:197], s[52:53], v[132:133]
	v_fma_f64 v[208:209], v[104:105], s[4:5], v[206:207]
	v_fma_f64 v[40:41], v[104:105], s[4:5], -v[206:207]
	v_mul_f64_e32 v[206:207], s[50:51], v[110:111]
	v_add_f64_e32 v[44:45], v[44:45], v[202:203]
	v_mul_f64_e32 v[202:203], s[42:43], v[114:115]
	v_add_f64_e32 v[20:21], v[208:209], v[20:21]
	;; [unrolled: 2-line block ×3, first 2 shown]
	s_delay_alu instid0(VALU_DEP_2) | instskip(SKIP_2) | instid1(VALU_DEP_3)
	v_fma_f64 v[40:41], v[106:107], s[4:5], v[208:209]
	v_fma_f64 v[211:212], v[106:107], s[4:5], -v[208:209]
	v_mul_f64_e32 v[208:209], s[30:31], v[122:123]
	v_add_f64_e32 v[40:41], v[40:41], v[26:27]
	v_fma_f64 v[26:27], v[108:109], s[26:27], -v[213:214]
	s_delay_alu instid0(VALU_DEP_4) | instskip(SKIP_2) | instid1(VALU_DEP_4)
	v_add_f64_e32 v[211:212], v[211:212], v[22:23]
	v_fma_f64 v[22:23], v[108:109], s[26:27], v[213:214]
	v_mul_f64_e32 v[213:214], s[0:1], v[128:129]
	v_add_f64_e32 v[26:27], v[26:27], v[24:25]
	v_add_f64_e32 v[24:25], v[42:43], v[40:41]
	v_mul_f64_e32 v[42:43], s[30:31], v[118:119]
	v_mul_f64_e32 v[40:41], s[36:37], v[122:123]
	v_add_f64_e32 v[22:23], v[22:23], v[20:21]
	v_fma_f64 v[20:21], v[112:113], s[26:27], -v[215:216]
	v_mul_f64_e32 v[215:216], s[0:1], v[124:125]
	v_add_f64_e64 v[42:43], v[168:169], -v[42:43]
	v_add_f64_e64 v[40:41], v[180:181], -v[40:41]
	v_mul_f64_e32 v[168:169], s[12:13], v[128:129]
	v_mul_f64_e32 v[180:181], s[38:39], v[110:111]
	v_add_f64_e32 v[20:21], v[20:21], v[211:212]
	v_mul_f64_e32 v[211:212], s[30:31], v[116:117]
	v_add_f64_e32 v[28:29], v[42:43], v[28:29]
	v_mul_f64_e32 v[42:43], s[40:41], v[136:137]
	s_delay_alu instid0(VALU_DEP_2) | instskip(SKIP_1) | instid1(VALU_DEP_3)
	v_add_f64_e32 v[28:29], v[40:41], v[28:29]
	v_mul_f64_e32 v[40:41], s[24:25], v[106:107]
	v_add_f64_e64 v[42:43], v[200:201], -v[42:43]
	v_mul_f64_e32 v[200:201], s[50:51], v[130:131]
	s_delay_alu instid0(VALU_DEP_4) | instskip(NEXT) | instid1(VALU_DEP_4)
	v_add_f64_e32 v[28:29], v[58:59], v[28:29]
	v_add_f64_e32 v[40:41], v[40:41], v[198:199]
	v_mul_f64_e32 v[58:59], s[42:43], v[126:127]
	v_mul_f64_e32 v[198:199], s[50:51], v[134:135]
	s_delay_alu instid0(VALU_DEP_4) | instskip(NEXT) | instid1(VALU_DEP_4)
	v_add_f64_e32 v[28:29], v[70:71], v[28:29]
	v_add_f64_e32 v[40:41], v[40:41], v[30:31]
	s_delay_alu instid0(VALU_DEP_4) | instskip(SKIP_4) | instid1(VALU_DEP_4)
	v_add_f64_e64 v[58:59], v[172:173], -v[58:59]
	v_mul_f64_e32 v[70:71], s[38:39], v[128:129]
	v_mul_f64_e32 v[172:173], s[36:37], v[136:137]
	v_add_f64_e32 v[28:29], v[42:43], v[28:29]
	v_mul_f64_e32 v[42:43], s[28:29], v[118:119]
	v_add_f64_e64 v[70:71], v[178:179], -v[70:71]
	v_mul_f64_e32 v[178:179], s[40:41], v[130:131]
	v_mul_f64_e32 v[130:131], s[34:35], v[130:131]
	v_add_f64_e32 v[30:31], v[46:47], v[28:29]
	v_add_f64_e32 v[28:29], v[44:45], v[40:41]
	v_mul_f64_e32 v[44:45], s[36:37], v[114:115]
	v_mul_f64_e32 v[40:41], s[44:45], v[122:123]
	v_add_f64_e64 v[42:43], v[156:157], -v[42:43]
	v_mul_f64_e32 v[46:47], s[22:23], v[94:95]
	s_delay_alu instid0(VALU_DEP_4) | instskip(NEXT) | instid1(VALU_DEP_4)
	v_add_f64_e64 v[44:45], v[142:143], -v[44:45]
	v_add_f64_e64 v[40:41], v[164:165], -v[40:41]
	v_mul_f64_e32 v[142:143], s[44:45], v[126:127]
	s_delay_alu instid0(VALU_DEP_4)
	v_add_f64_e32 v[46:47], v[46:47], v[162:163]
	v_mul_f64_e32 v[162:163], s[38:39], v[116:117]
	v_mul_f64_e32 v[164:165], s[50:51], v[126:127]
	;; [unrolled: 1-line block ×3, first 2 shown]
	v_add_f64_e32 v[32:33], v[44:45], v[32:33]
	v_mul_f64_e32 v[44:45], s[26:27], v[102:103]
	v_add_f64_e32 v[34:35], v[46:47], v[34:35]
	v_mul_f64_e32 v[46:47], s[46:47], v[134:135]
	s_delay_alu instid0(VALU_DEP_4) | instskip(NEXT) | instid1(VALU_DEP_4)
	v_add_f64_e32 v[32:33], v[42:43], v[32:33]
	v_add_f64_e32 v[44:45], v[44:45], v[174:175]
	v_mul_f64_e32 v[42:43], s[34:35], v[136:137]
	v_add_f64_e32 v[34:35], v[60:61], v[34:35]
	v_add_f64_e64 v[46:47], v[192:193], -v[46:47]
	v_mul_f64_e32 v[60:61], s[44:45], v[114:115]
	v_mul_f64_e32 v[174:175], s[36:37], v[132:133]
	;; [unrolled: 1-line block ×5, first 2 shown]
	v_add_f64_e32 v[32:33], v[40:41], v[32:33]
	v_mul_f64_e32 v[40:41], s[20:21], v[106:107]
	v_add_f64_e64 v[42:43], v[188:189], -v[42:43]
	v_add_f64_e32 v[34:35], v[44:45], v[34:35]
	v_mul_f64_e32 v[44:45], s[2:3], v[112:113]
	v_mul_f64_e32 v[188:189], s[30:31], v[120:121]
	;; [unrolled: 1-line block ×3, first 2 shown]
	v_add_f64_e32 v[32:33], v[58:59], v[32:33]
	v_add_f64_e32 v[40:41], v[40:41], v[182:183]
	v_mul_f64_e32 v[58:59], s[44:45], v[132:133]
	s_mov_b32 s45, 0x3fc7851a
	v_add_f64_e32 v[44:45], v[44:45], v[190:191]
	s_wait_alu 0xfffe
	v_mul_f64_e32 v[156:157], s[44:45], v[118:119]
	v_mul_f64_e32 v[158:159], s[44:45], v[110:111]
	;; [unrolled: 1-line block ×6, first 2 shown]
	v_add_f64_e32 v[32:33], v[70:71], v[32:33]
	v_add_f64_e32 v[40:41], v[40:41], v[34:35]
	v_mul_f64_e32 v[70:71], s[28:29], v[114:115]
	s_delay_alu instid0(VALU_DEP_3) | instskip(SKIP_1) | instid1(VALU_DEP_2)
	v_add_f64_e32 v[32:33], v[42:43], v[32:33]
	v_fma_f64 v[42:43], v[88:89], s[22:23], v[138:139]
	v_add_f64_e32 v[34:35], v[46:47], v[32:33]
	v_add_f64_e32 v[32:33], v[44:45], v[40:41]
	v_fma_f64 v[40:41], v[82:83], s[18:19], -v[70:71]
	s_delay_alu instid0(VALU_DEP_4) | instskip(SKIP_1) | instid1(VALU_DEP_3)
	v_add_f64_e32 v[42:43], v[42:43], v[54:55]
	v_mul_f64_e32 v[54:55], s[38:39], v[84:85]
	v_add_f64_e32 v[36:37], v[40:41], v[36:37]
	v_fma_f64 v[40:41], v[88:89], s[18:19], v[72:73]
	s_delay_alu instid0(VALU_DEP_1) | instskip(SKIP_1) | instid1(VALU_DEP_1)
	v_add_f64_e32 v[38:39], v[40:41], v[38:39]
	v_fma_f64 v[40:41], v[86:87], s[22:23], -v[156:157]
	v_add_f64_e32 v[36:37], v[40:41], v[36:37]
	v_fma_f64 v[40:41], v[90:91], s[22:23], v[158:159]
	s_delay_alu instid0(VALU_DEP_1) | instskip(SKIP_1) | instid1(VALU_DEP_1)
	v_add_f64_e32 v[38:39], v[40:41], v[38:39]
	v_fma_f64 v[40:41], v[92:93], s[26:27], -v[160:161]
	;; [unrolled: 5-line block ×6, first 2 shown]
	v_add_f64_e32 v[38:39], v[38:39], v[36:37]
	v_fma_f64 v[36:37], v[112:113], s[24:25], v[178:179]
	s_delay_alu instid0(VALU_DEP_1) | instskip(SKIP_2) | instid1(VALU_DEP_2)
	v_add_f64_e32 v[36:37], v[36:37], v[40:41]
	v_fma_f64 v[40:41], v[82:83], s[22:23], -v[60:61]
	v_fma_f64 v[60:61], v[82:83], s[22:23], v[60:61]
	v_add_f64_e32 v[40:41], v[40:41], v[152:153]
	v_mul_f64_e32 v[152:153], s[38:39], v[118:119]
	s_delay_alu instid0(VALU_DEP_3) | instskip(NEXT) | instid1(VALU_DEP_2)
	v_add_f64_e32 v[60:61], v[60:61], v[148:149]
	v_fma_f64 v[44:45], v[86:87], s[26:27], -v[152:153]
	s_delay_alu instid0(VALU_DEP_1) | instskip(SKIP_1) | instid1(VALU_DEP_1)
	v_add_f64_e32 v[40:41], v[44:45], v[40:41]
	v_fma_f64 v[44:45], v[90:91], s[26:27], v[180:181]
	v_add_f64_e32 v[42:43], v[44:45], v[42:43]
	v_fma_f64 v[44:45], v[92:93], s[2:3], -v[182:183]
	s_delay_alu instid0(VALU_DEP_1) | instskip(SKIP_1) | instid1(VALU_DEP_1)
	v_add_f64_e32 v[40:41], v[44:45], v[40:41]
	v_fma_f64 v[44:45], v[94:95], s[2:3], v[184:185]
	;; [unrolled: 5-line block ×6, first 2 shown]
	v_add_f64_e32 v[40:41], v[40:41], v[44:45]
	v_fma_f64 v[44:45], v[82:83], s[24:25], -v[202:203]
	s_delay_alu instid0(VALU_DEP_1) | instskip(SKIP_3) | instid1(VALU_DEP_4)
	v_add_f64_e32 v[44:45], v[44:45], v[146:147]
	v_mul_f64_e32 v[146:147], s[42:43], v[84:85]
	v_fma_f64 v[84:85], v[88:89], s[26:27], v[54:55]
	v_fma_f64 v[54:55], v[88:89], s[26:27], -v[54:55]
	v_add_f64_e32 v[44:45], v[48:49], v[44:45]
	s_delay_alu instid0(VALU_DEP_4)
	v_fma_f64 v[46:47], v[88:89], s[24:25], v[146:147]
	v_fma_f64 v[48:49], v[90:91], s[4:5], v[206:207]
	v_add_f64_e32 v[50:51], v[84:85], v[50:51]
	v_mul_f64_e32 v[84:85], s[12:13], v[118:119]
	v_add_f64_e32 v[54:55], v[54:55], v[62:63]
	v_add_f64_e32 v[46:47], v[46:47], v[52:53]
	v_mul_f64_e32 v[52:53], s[38:39], v[114:115]
	s_delay_alu instid0(VALU_DEP_4) | instskip(SKIP_1) | instid1(VALU_DEP_4)
	v_fma_f64 v[114:115], v[86:87], s[2:3], -v[84:85]
	v_fma_f64 v[62:63], v[86:87], s[2:3], v[84:85]
	v_add_f64_e32 v[46:47], v[48:49], v[46:47]
	v_fma_f64 v[48:49], v[92:93], s[20:21], -v[208:209]
	s_delay_alu instid0(VALU_DEP_1) | instskip(SKIP_1) | instid1(VALU_DEP_1)
	v_add_f64_e32 v[44:45], v[48:49], v[44:45]
	v_fma_f64 v[48:49], v[94:95], s[20:21], v[211:212]
	v_add_f64_e32 v[46:47], v[48:49], v[46:47]
	v_fma_f64 v[48:49], v[96:97], s[22:23], -v[142:143]
	s_delay_alu instid0(VALU_DEP_1) | instskip(SKIP_1) | instid1(VALU_DEP_1)
	v_add_f64_e32 v[44:45], v[48:49], v[44:45]
	;; [unrolled: 5-line block ×5, first 2 shown]
	v_fma_f64 v[44:45], v[112:113], s[18:19], v[219:220]
	v_add_f64_e32 v[44:45], v[44:45], v[48:49]
	v_fma_f64 v[48:49], v[82:83], s[26:27], -v[52:53]
	v_fma_f64 v[52:53], v[82:83], s[26:27], v[52:53]
	s_delay_alu instid0(VALU_DEP_2) | instskip(NEXT) | instid1(VALU_DEP_2)
	v_add_f64_e32 v[48:49], v[48:49], v[140:141]
	v_add_f64_e32 v[52:53], v[52:53], v[74:75]
	s_delay_alu instid0(VALU_DEP_2) | instskip(SKIP_1) | instid1(VALU_DEP_3)
	v_add_f64_e32 v[48:49], v[114:115], v[48:49]
	v_fma_f64 v[114:115], v[90:91], s[2:3], v[110:111]
	v_add_f64_e32 v[52:53], v[62:63], v[52:53]
	v_fma_f64 v[62:63], v[90:91], s[2:3], -v[110:111]
	s_delay_alu instid0(VALU_DEP_3) | instskip(SKIP_1) | instid1(VALU_DEP_3)
	v_add_f64_e32 v[50:51], v[114:115], v[50:51]
	v_mul_f64_e32 v[114:115], s[40:41], v[122:123]
	v_add_f64_e32 v[54:55], v[62:63], v[54:55]
	s_delay_alu instid0(VALU_DEP_2) | instskip(SKIP_1) | instid1(VALU_DEP_2)
	v_fma_f64 v[118:119], v[92:93], s[24:25], -v[114:115]
	v_fma_f64 v[62:63], v[92:93], s[24:25], v[114:115]
	v_add_f64_e32 v[48:49], v[118:119], v[48:49]
	v_fma_f64 v[118:119], v[94:95], s[24:25], v[116:117]
	s_delay_alu instid0(VALU_DEP_3) | instskip(SKIP_1) | instid1(VALU_DEP_3)
	v_add_f64_e32 v[52:53], v[62:63], v[52:53]
	v_fma_f64 v[62:63], v[94:95], s[24:25], -v[116:117]
	v_add_f64_e32 v[50:51], v[118:119], v[50:51]
	v_mul_f64_e32 v[118:119], s[0:1], v[126:127]
	s_delay_alu instid0(VALU_DEP_3) | instskip(NEXT) | instid1(VALU_DEP_2)
	v_add_f64_e32 v[54:55], v[62:63], v[54:55]
	v_fma_f64 v[122:123], v[96:97], s[16:17], -v[118:119]
	v_fma_f64 v[62:63], v[96:97], s[16:17], v[118:119]
	s_delay_alu instid0(VALU_DEP_2) | instskip(SKIP_1) | instid1(VALU_DEP_3)
	v_add_f64_e32 v[48:49], v[122:123], v[48:49]
	v_fma_f64 v[122:123], v[98:99], s[16:17], v[120:121]
	v_add_f64_e32 v[52:53], v[62:63], v[52:53]
	v_fma_f64 v[62:63], v[98:99], s[16:17], -v[120:121]
	s_delay_alu instid0(VALU_DEP_3) | instskip(SKIP_1) | instid1(VALU_DEP_3)
	v_add_f64_e32 v[50:51], v[122:123], v[50:51]
	v_mul_f64_e32 v[122:123], s[10:11], v[128:129]
	v_add_f64_e32 v[54:55], v[62:63], v[54:55]
	v_mul_f64_e32 v[128:129], s[34:35], v[134:135]
	s_delay_alu instid0(VALU_DEP_3) | instskip(SKIP_1) | instid1(VALU_DEP_2)
	v_fma_f64 v[126:127], v[100:101], s[4:5], -v[122:123]
	v_fma_f64 v[62:63], v[100:101], s[4:5], v[122:123]
	v_add_f64_e32 v[48:49], v[126:127], v[48:49]
	v_fma_f64 v[126:127], v[102:103], s[4:5], v[124:125]
	s_delay_alu instid0(VALU_DEP_3) | instskip(SKIP_1) | instid1(VALU_DEP_3)
	v_add_f64_e32 v[52:53], v[62:63], v[52:53]
	v_fma_f64 v[62:63], v[102:103], s[4:5], -v[124:125]
	v_add_f64_e32 v[50:51], v[126:127], v[50:51]
	v_fma_f64 v[126:127], v[104:105], s[22:23], -v[56:57]
	v_fma_f64 v[56:57], v[104:105], s[22:23], v[56:57]
	s_delay_alu instid0(VALU_DEP_4) | instskip(SKIP_1) | instid1(VALU_DEP_4)
	v_add_f64_e32 v[54:55], v[62:63], v[54:55]
	v_fma_f64 v[62:63], v[86:87], s[4:5], v[204:205]
	v_add_f64_e32 v[48:49], v[126:127], v[48:49]
	s_delay_alu instid0(VALU_DEP_4) | instskip(SKIP_3) | instid1(VALU_DEP_3)
	v_add_f64_e32 v[52:53], v[56:57], v[52:53]
	v_fma_f64 v[56:57], v[106:107], s[22:23], -v[58:59]
	v_fma_f64 v[126:127], v[106:107], s[22:23], v[58:59]
	v_fma_f64 v[58:59], v[112:113], s[20:21], -v[130:131]
	v_add_f64_e32 v[56:57], v[56:57], v[54:55]
	v_fma_f64 v[54:55], v[108:109], s[20:21], v[128:129]
	s_delay_alu instid0(VALU_DEP_4) | instskip(SKIP_1) | instid1(VALU_DEP_3)
	v_add_f64_e32 v[126:127], v[126:127], v[50:51]
	v_fma_f64 v[50:51], v[108:109], s[20:21], -v[128:129]
	v_add_f64_e32 v[54:55], v[54:55], v[52:53]
	v_add_f64_e32 v[52:53], v[58:59], v[56:57]
	v_fma_f64 v[56:57], v[82:83], s[24:25], v[202:203]
	v_fma_f64 v[58:59], v[88:89], s[24:25], -v[146:147]
	v_add_f64_e32 v[50:51], v[50:51], v[48:49]
	v_fma_f64 v[48:49], v[112:113], s[20:21], v[130:131]
	s_delay_alu instid0(VALU_DEP_4) | instskip(NEXT) | instid1(VALU_DEP_4)
	v_add_f64_e32 v[56:57], v[56:57], v[144:145]
	v_add_f64_e32 v[58:59], v[58:59], v[64:65]
	v_fma_f64 v[64:65], v[112:113], s[18:19], -v[219:220]
	s_delay_alu instid0(VALU_DEP_4) | instskip(NEXT) | instid1(VALU_DEP_4)
	v_add_f64_e32 v[48:49], v[48:49], v[126:127]
	v_add_f64_e32 v[56:57], v[62:63], v[56:57]
	v_fma_f64 v[62:63], v[90:91], s[4:5], -v[206:207]
	s_delay_alu instid0(VALU_DEP_1) | instskip(SKIP_1) | instid1(VALU_DEP_1)
	v_add_f64_e32 v[58:59], v[62:63], v[58:59]
	v_fma_f64 v[62:63], v[92:93], s[20:21], v[208:209]
	v_add_f64_e32 v[56:57], v[62:63], v[56:57]
	v_fma_f64 v[62:63], v[94:95], s[20:21], -v[211:212]
	s_delay_alu instid0(VALU_DEP_1) | instskip(SKIP_1) | instid1(VALU_DEP_1)
	v_add_f64_e32 v[58:59], v[62:63], v[58:59]
	v_fma_f64 v[62:63], v[96:97], s[22:23], v[142:143]
	;; [unrolled: 5-line block ×5, first 2 shown]
	v_add_f64_e32 v[58:59], v[58:59], v[56:57]
	s_delay_alu instid0(VALU_DEP_3) | instskip(SKIP_2) | instid1(VALU_DEP_2)
	v_add_f64_e32 v[56:57], v[64:65], v[62:63]
	v_fma_f64 v[62:63], v[88:89], s[22:23], -v[138:139]
	v_fma_f64 v[64:65], v[86:87], s[26:27], v[152:153]
	v_add_f64_e32 v[62:63], v[62:63], v[66:67]
	s_delay_alu instid0(VALU_DEP_2) | instskip(SKIP_2) | instid1(VALU_DEP_2)
	v_add_f64_e32 v[60:61], v[64:65], v[60:61]
	v_fma_f64 v[64:65], v[90:91], s[26:27], -v[180:181]
	v_fma_f64 v[66:67], v[112:113], s[4:5], -v[200:201]
	v_add_f64_e32 v[62:63], v[64:65], v[62:63]
	v_fma_f64 v[64:65], v[92:93], s[2:3], v[182:183]
	s_delay_alu instid0(VALU_DEP_1) | instskip(SKIP_1) | instid1(VALU_DEP_1)
	v_add_f64_e32 v[60:61], v[64:65], v[60:61]
	v_fma_f64 v[64:65], v[96:97], s[20:21], v[186:187]
	v_add_f64_e32 v[60:61], v[64:65], v[60:61]
	v_fma_f64 v[64:65], v[94:95], s[2:3], -v[184:185]
	s_delay_alu instid0(VALU_DEP_1) | instskip(SKIP_1) | instid1(VALU_DEP_1)
	v_add_f64_e32 v[62:63], v[64:65], v[62:63]
	v_fma_f64 v[64:65], v[98:99], s[20:21], -v[188:189]
	v_add_f64_e32 v[62:63], v[64:65], v[62:63]
	v_fma_f64 v[64:65], v[100:101], s[24:25], v[190:191]
	s_delay_alu instid0(VALU_DEP_1) | instskip(SKIP_1) | instid1(VALU_DEP_1)
	v_add_f64_e32 v[60:61], v[64:65], v[60:61]
	v_fma_f64 v[64:65], v[102:103], s[24:25], -v[192:193]
	v_add_f64_e32 v[62:63], v[64:65], v[62:63]
	v_fma_f64 v[64:65], v[104:105], s[18:19], v[194:195]
	s_delay_alu instid0(VALU_DEP_1) | instskip(SKIP_1) | instid1(VALU_DEP_1)
	v_add_f64_e32 v[60:61], v[64:65], v[60:61]
	v_fma_f64 v[64:65], v[106:107], s[18:19], -v[196:197]
	v_add_f64_e32 v[64:65], v[64:65], v[62:63]
	v_fma_f64 v[62:63], v[108:109], s[4:5], v[198:199]
	s_delay_alu instid0(VALU_DEP_1) | instskip(NEXT) | instid1(VALU_DEP_3)
	v_add_f64_e32 v[62:63], v[62:63], v[60:61]
	v_add_f64_e32 v[60:61], v[66:67], v[64:65]
	v_fma_f64 v[64:65], v[82:83], s[18:19], v[70:71]
	v_fma_f64 v[66:67], v[88:89], s[18:19], -v[72:73]
	v_fma_f64 v[70:71], v[86:87], s[22:23], v[156:157]
	v_fma_f64 v[72:73], v[90:91], s[22:23], -v[158:159]
	s_delay_alu instid0(VALU_DEP_4) | instskip(NEXT) | instid1(VALU_DEP_4)
	v_add_f64_e32 v[64:65], v[64:65], v[154:155]
	v_add_f64_e32 v[66:67], v[66:67], v[68:69]
	v_fma_f64 v[68:69], v[92:93], s[26:27], v[160:161]
	s_delay_alu instid0(VALU_DEP_3) | instskip(SKIP_1) | instid1(VALU_DEP_4)
	v_add_f64_e32 v[64:65], v[70:71], v[64:65]
	v_fma_f64 v[70:71], v[94:95], s[26:27], -v[162:163]
	v_add_f64_e32 v[66:67], v[72:73], v[66:67]
	v_fma_f64 v[72:73], v[96:97], s[4:5], v[164:165]
	s_delay_alu instid0(VALU_DEP_4) | instskip(SKIP_1) | instid1(VALU_DEP_4)
	v_add_f64_e32 v[64:65], v[68:69], v[64:65]
	v_fma_f64 v[68:69], v[98:99], s[4:5], -v[166:167]
	v_add_f64_e32 v[66:67], v[70:71], v[66:67]
	v_fma_f64 v[70:71], v[100:101], s[2:3], v[168:169]
	s_delay_alu instid0(VALU_DEP_4) | instskip(SKIP_1) | instid1(VALU_DEP_4)
	;; [unrolled: 5-line block ×4, first 2 shown]
	v_add_f64_e32 v[64:65], v[68:69], v[64:65]
	v_fma_f64 v[68:69], v[112:113], s[24:25], -v[178:179]
	v_add_f64_e32 v[70:71], v[70:71], v[66:67]
	s_delay_alu instid0(VALU_DEP_3) | instskip(NEXT) | instid1(VALU_DEP_2)
	v_add_f64_e32 v[66:67], v[72:73], v[64:65]
	v_add_f64_e32 v[64:65], v[68:69], v[70:71]
	v_lshl_add_u32 v68, v78, 8, v210
	ds_store_b128 v68, v[8:11]
	ds_store_b128 v68, v[28:31] offset:16
	ds_store_b128 v68, v[32:35] offset:32
	;; [unrolled: 1-line block ×16, first 2 shown]
.LBB0_15:
	s_or_b32 exec_lo, exec_lo, s33
	v_add_nc_u32_e32 v74, 0x66, v78
	v_and_b32_e32 v8, 0xff, v78
	v_add_nc_u32_e32 v75, 0xcc, v78
	v_add_nc_u32_e32 v9, 0x132, v78
	;; [unrolled: 1-line block ×3, first 2 shown]
	v_and_b32_e32 v72, 0xff, v74
	v_mul_lo_u16 v8, 0xf1, v8
	v_and_b32_e32 v79, 0xffff, v75
	s_load_b64 s[2:3], s[14:15], 0x0
	v_and_b32_e32 v13, 0xffff, v16
	v_mul_lo_u16 v10, 0xf1, v72
	v_lshrrev_b16 v73, 12, v8
	v_and_b32_e32 v8, 0xffff, v9
	global_wb scope:SCOPE_SE
	s_wait_dscnt 0x0
	s_wait_kmcnt 0x0
	s_barrier_signal -1
	v_lshrrev_b16 v122, 12, v10
	v_mul_u32_u24_e32 v10, 0xf0f1, v79
	v_mul_lo_u16 v11, v73, 17
	v_mul_u32_u24_e32 v8, 0xf0f1, v8
	s_barrier_wait -1
	v_mul_lo_u16 v12, v122, 17
	v_lshrrev_b32_e32 v123, 20, v10
	v_sub_nc_u16 v10, v78, v11
	v_mul_u32_u24_e32 v11, 0xf0f1, v13
	v_lshrrev_b32_e32 v124, 20, v8
	v_sub_nc_u16 v8, v74, v12
	v_mul_lo_u16 v12, v123, 17
	v_and_b32_e32 v125, 0xff, v10
	v_lshrrev_b32_e32 v127, 20, v11
	v_mul_lo_u16 v10, v124, 17
	v_and_b32_e32 v126, 0xff, v8
	v_sub_nc_u16 v8, v75, v12
	v_lshlrev_b32_e32 v12, 5, v125
	v_mul_lo_u16 v18, v127, 17
	v_sub_nc_u16 v17, v9, v10
	v_lshlrev_b32_e32 v20, 5, v126
	v_and_b32_e32 v128, 0xffff, v8
	global_inv scope:SCOPE_SE
	v_sub_nc_u16 v24, v16, v18
	v_and_b32_e32 v129, 0xffff, v17
	s_clause 0x1
	global_load_b128 v[8:11], v12, s[8:9] offset:16
	global_load_b128 v[12:15], v12, s[8:9]
	v_lshlrev_b32_e32 v28, 5, v128
	s_clause 0x1
	global_load_b128 v[16:19], v20, s[8:9]
	global_load_b128 v[20:23], v20, s[8:9] offset:16
	v_and_b32_e32 v130, 0xffff, v24
	v_lshlrev_b32_e32 v36, 5, v129
	s_clause 0x2
	global_load_b128 v[24:27], v28, s[8:9]
	global_load_b128 v[28:31], v28, s[8:9] offset:16
	global_load_b128 v[32:35], v36, s[8:9]
	v_lshlrev_b32_e32 v44, 5, v130
	s_clause 0x2
	global_load_b128 v[36:39], v36, s[8:9] offset:16
	global_load_b128 v[40:43], v44, s[8:9]
	global_load_b128 v[44:47], v44, s[8:9] offset:16
	ds_load_b128 v[48:51], v210 offset:8160
	ds_load_b128 v[52:55], v210 offset:16320
	;; [unrolled: 1-line block ×11, first 2 shown]
	s_mov_b32 s10, 0xe8584caa
	s_mov_b32 s11, 0xbfebb67a
	;; [unrolled: 1-line block ×3, first 2 shown]
	s_wait_alu 0xfffe
	s_mov_b32 s4, s10
	v_and_b32_e32 v73, 0xffff, v73
	v_cmp_gt_u32_e64 s0, 51, v78
	s_wait_loadcnt_dscnt 0x909
	v_mul_f64_e32 v[104:105], v[54:55], v[10:11]
	s_wait_loadcnt 0x8
	v_mul_f64_e32 v[102:103], v[50:51], v[14:15]
	v_mul_f64_e32 v[14:15], v[48:49], v[14:15]
	;; [unrolled: 1-line block ×3, first 2 shown]
	s_wait_loadcnt_dscnt 0x708
	v_mul_f64_e32 v[106:107], v[58:59], v[18:19]
	v_mul_f64_e32 v[18:19], v[56:57], v[18:19]
	s_wait_loadcnt_dscnt 0x607
	v_mul_f64_e32 v[108:109], v[62:63], v[22:23]
	v_mul_f64_e32 v[22:23], v[60:61], v[22:23]
	;; [unrolled: 3-line block ×4, first 2 shown]
	s_wait_loadcnt_dscnt 0x304
	v_mul_f64_e32 v[114:115], v[84:85], v[34:35]
	s_wait_loadcnt_dscnt 0x203
	v_mul_f64_e32 v[116:117], v[88:89], v[38:39]
	v_mul_f64_e32 v[34:35], v[82:83], v[34:35]
	;; [unrolled: 1-line block ×3, first 2 shown]
	s_wait_loadcnt_dscnt 0x102
	v_mul_f64_e32 v[118:119], v[92:93], v[42:43]
	s_wait_loadcnt_dscnt 0x1
	v_mul_f64_e32 v[120:121], v[96:97], v[46:47]
	v_mul_f64_e32 v[42:43], v[90:91], v[42:43]
	;; [unrolled: 1-line block ×3, first 2 shown]
	v_fma_f64 v[52:53], v[52:53], v[8:9], v[104:105]
	v_fma_f64 v[48:49], v[48:49], v[12:13], v[102:103]
	v_fma_f64 v[50:51], v[50:51], v[12:13], -v[14:15]
	v_fma_f64 v[54:55], v[54:55], v[8:9], -v[10:11]
	v_fma_f64 v[56:57], v[56:57], v[16:17], v[106:107]
	v_fma_f64 v[58:59], v[58:59], v[16:17], -v[18:19]
	v_fma_f64 v[60:61], v[60:61], v[20:21], v[108:109]
	;; [unrolled: 2-line block ×5, first 2 shown]
	v_fma_f64 v[68:69], v[86:87], v[36:37], v[116:117]
	v_fma_f64 v[28:29], v[84:85], v[32:33], -v[34:35]
	v_fma_f64 v[34:35], v[88:89], v[36:37], -v[38:39]
	v_fma_f64 v[32:33], v[90:91], v[40:41], v[118:119]
	v_fma_f64 v[36:37], v[94:95], v[44:45], v[120:121]
	v_fma_f64 v[38:39], v[92:93], v[40:41], -v[42:43]
	v_fma_f64 v[40:41], v[96:97], v[44:45], -v[46:47]
	ds_load_b128 v[8:11], v210
	ds_load_b128 v[12:15], v210 offset:1632
	ds_load_b128 v[16:19], v210 offset:3264
	;; [unrolled: 1-line block ×3, first 2 shown]
	global_wb scope:SCOPE_SE
	s_wait_dscnt 0x0
	s_barrier_signal -1
	s_barrier_wait -1
	global_inv scope:SCOPE_SE
	v_add_f64_e32 v[42:43], v[48:49], v[52:53]
	v_add_f64_e32 v[94:95], v[8:9], v[48:49]
	;; [unrolled: 1-line block ×3, first 2 shown]
	v_add_f64_e64 v[96:97], v[50:51], -v[54:55]
	v_add_f64_e32 v[50:51], v[10:11], v[50:51]
	v_add_f64_e32 v[46:47], v[56:57], v[60:61]
	v_add_f64_e32 v[70:71], v[58:59], v[62:63]
	v_add_f64_e64 v[48:49], v[48:49], -v[52:53]
	v_add_f64_e32 v[102:103], v[12:13], v[56:57]
	v_add_f64_e32 v[82:83], v[64:65], v[66:67]
	v_add_f64_e32 v[84:85], v[24:25], v[30:31]
	v_add_f64_e32 v[104:105], v[14:15], v[58:59]
	v_add_f64_e32 v[86:87], v[26:27], v[68:69]
	v_add_f64_e64 v[58:59], v[58:59], -v[62:63]
	v_add_f64_e32 v[88:89], v[28:29], v[34:35]
	v_add_f64_e32 v[114:115], v[98:99], v[32:33]
	;; [unrolled: 6-line block ×3, first 2 shown]
	v_add_f64_e64 v[64:65], v[64:65], -v[66:67]
	v_add_f64_e32 v[110:111], v[20:21], v[26:27]
	v_add_f64_e32 v[112:113], v[22:23], v[28:29]
	v_add_f64_e64 v[118:119], v[38:39], -v[40:41]
	v_fma_f64 v[42:43], v[42:43], -0.5, v[8:9]
	v_fma_f64 v[44:45], v[44:45], -0.5, v[10:11]
	;; [unrolled: 1-line block ×4, first 2 shown]
	v_add_f64_e64 v[70:71], v[24:25], -v[30:31]
	v_add_f64_e32 v[24:25], v[102:103], v[60:61]
	v_fma_f64 v[16:17], v[82:83], -0.5, v[16:17]
	v_fma_f64 v[18:19], v[84:85], -0.5, v[18:19]
	v_add_f64_e64 v[82:83], v[28:29], -v[34:35]
	v_fma_f64 v[84:85], v[86:87], -0.5, v[20:21]
	v_add_f64_e64 v[86:87], v[26:27], -v[68:69]
	v_fma_f64 v[88:89], v[88:89], -0.5, v[22:23]
	v_add_f64_e32 v[20:21], v[94:95], v[52:53]
	v_fma_f64 v[90:91], v[90:91], -0.5, v[98:99]
	v_add_f64_e64 v[98:99], v[32:33], -v[36:37]
	v_fma_f64 v[92:93], v[92:93], -0.5, v[100:101]
	v_add_f64_e32 v[22:23], v[50:51], v[54:55]
	v_add_f64_e32 v[8:9], v[114:115], v[36:37]
	;; [unrolled: 1-line block ×8, first 2 shown]
	v_mul_u32_u24_e32 v68, 0x330, v73
	v_and_b32_e32 v69, 0xffff, v122
	v_mul_u32_u24_e32 v73, 0x330, v124
	s_delay_alu instid0(VALU_DEP_2)
	v_mul_u32_u24_e32 v69, 0x330, v69
	v_fma_f64 v[36:37], v[96:97], s[10:11], v[42:43]
	s_wait_alu 0xfffe
	v_fma_f64 v[40:41], v[96:97], s[4:5], v[42:43]
	v_fma_f64 v[38:39], v[48:49], s[4:5], v[44:45]
	;; [unrolled: 1-line block ×19, first 2 shown]
	v_lshlrev_b32_e32 v70, 4, v125
	v_mul_u32_u24_e32 v71, 0x330, v123
	v_lshlrev_b32_e32 v83, 4, v128
	v_lshlrev_b32_e32 v84, 4, v129
	v_mul_u32_u24_e32 v82, 0x330, v127
	v_add3_u32 v68, 0, v68, v70
	v_lshlrev_b32_e32 v70, 4, v126
	v_lshlrev_b32_e32 v85, 4, v130
	s_delay_alu instid0(VALU_DEP_2) | instskip(SKIP_2) | instid1(VALU_DEP_4)
	v_add3_u32 v69, 0, v69, v70
	v_add3_u32 v70, 0, v71, v83
	;; [unrolled: 1-line block ×4, first 2 shown]
	ds_store_b128 v68, v[20:23]
	ds_store_b128 v68, v[36:39] offset:272
	ds_store_b128 v68, v[40:43] offset:544
	ds_store_b128 v69, v[24:27]
	ds_store_b128 v69, v[44:47] offset:272
	ds_store_b128 v69, v[48:51] offset:544
	ds_store_b128 v70, v[28:31]
	ds_store_b128 v70, v[52:55] offset:272
	ds_store_b128 v70, v[56:59] offset:544
	ds_store_b128 v71, v[32:35]
	ds_store_b128 v71, v[60:63] offset:272
	ds_store_b128 v71, v[64:67] offset:544
	ds_store_b128 v73, v[8:11]
	ds_store_b128 v73, v[12:15] offset:272
	ds_store_b128 v73, v[16:19] offset:544
	global_wb scope:SCOPE_SE
	s_wait_dscnt 0x0
	s_barrier_signal -1
	s_barrier_wait -1
	global_inv scope:SCOPE_SE
	ds_load_b128 v[28:31], v210
	ds_load_b128 v[24:27], v210 offset:1632
	ds_load_b128 v[40:43], v210 offset:4080
	;; [unrolled: 1-line block ×11, first 2 shown]
                                        ; implicit-def: $vgpr22_vgpr23
	s_and_saveexec_b32 s1, s0
	s_cbranch_execz .LBB0_17
; %bb.16:
	ds_load_b128 v[8:11], v210 offset:3264
	ds_load_b128 v[12:15], v210 offset:7344
	;; [unrolled: 1-line block ×6, first 2 shown]
.LBB0_17:
	s_wait_alu 0xfffe
	s_or_b32 exec_lo, exec_lo, s1
	v_mul_lo_u16 v72, 0xa1, v72
	v_subrev_nc_u32_e32 v73, 51, v78
	s_delay_alu instid0(VALU_DEP_2) | instskip(NEXT) | instid1(VALU_DEP_2)
	v_lshrrev_b16 v132, 13, v72
	v_cndmask_b32_e64 v133, v73, v78, s0
	s_delay_alu instid0(VALU_DEP_2) | instskip(NEXT) | instid1(VALU_DEP_2)
	v_mul_lo_u16 v82, v132, 51
	v_mul_i32_i24_e32 v72, 5, v133
	s_delay_alu instid0(VALU_DEP_2) | instskip(SKIP_1) | instid1(VALU_DEP_1)
	v_sub_nc_u16 v84, v74, v82
	v_mov_b32_e32 v73, 0
	v_lshlrev_b64_e32 v[82:83], 4, v[72:73]
	s_delay_alu instid0(VALU_DEP_3) | instskip(NEXT) | instid1(VALU_DEP_1)
	v_and_b32_e32 v72, 0xff, v84
	v_mul_u32_u24_e32 v90, 5, v72
	s_delay_alu instid0(VALU_DEP_3) | instskip(SKIP_1) | instid1(VALU_DEP_4)
	v_add_co_u32 v110, s1, s8, v82
	s_wait_alu 0xf1ff
	v_add_co_ci_u32_e64 v111, s1, s9, v83, s1
	s_delay_alu instid0(VALU_DEP_3)
	v_lshlrev_b32_e32 v118, 4, v90
	s_clause 0x9
	global_load_b128 v[82:85], v[110:111], off offset:576
	global_load_b128 v[86:89], v[110:111], off offset:608
	global_load_b128 v[90:93], v118, s[8:9] offset:576
	global_load_b128 v[94:97], v118, s[8:9] offset:608
	global_load_b128 v[98:101], v[110:111], off offset:544
	global_load_b128 v[102:105], v118, s[8:9] offset:544
	global_load_b128 v[106:109], v[110:111], off offset:560
	global_load_b128 v[110:113], v[110:111], off offset:592
	global_load_b128 v[114:117], v118, s[8:9] offset:560
	global_load_b128 v[118:121], v118, s[8:9] offset:592
	v_cmp_lt_u32_e64 s1, 50, v78
	v_lshlrev_b32_e32 v72, 4, v72
	global_wb scope:SCOPE_SE
	s_wait_loadcnt_dscnt 0x0
	s_barrier_signal -1
	s_barrier_wait -1
	global_inv scope:SCOPE_SE
	v_mul_f64_e32 v[126:127], v[56:57], v[92:93]
	v_mul_f64_e32 v[128:129], v[60:61], v[96:97]
	;; [unrolled: 1-line block ×10, first 2 shown]
	v_fma_f64 v[58:59], v[58:59], v[90:91], -v[126:127]
	v_fma_f64 v[62:63], v[62:63], v[94:95], -v[128:129]
	v_mul_f64_e32 v[126:127], v[54:55], v[112:113]
	v_mul_f64_e32 v[112:113], v[52:53], v[112:113]
	v_fma_f64 v[66:67], v[66:67], v[82:83], -v[122:123]
	v_fma_f64 v[70:71], v[70:71], v[86:87], -v[124:125]
	v_mul_f64_e32 v[122:123], v[32:33], v[104:105]
	v_mul_f64_e32 v[124:125], v[50:51], v[108:109]
	;; [unrolled: 1-line block ×3, first 2 shown]
	v_fma_f64 v[64:65], v[64:65], v[82:83], v[84:85]
	v_fma_f64 v[68:69], v[68:69], v[86:87], v[88:89]
	v_fma_f64 v[42:43], v[42:43], v[98:99], -v[130:131]
	v_mul_f64_e32 v[104:105], v[34:35], v[104:105]
	v_mul_f64_e32 v[84:85], v[38:39], v[116:117]
	;; [unrolled: 1-line block ×5, first 2 shown]
	v_fma_f64 v[56:57], v[56:57], v[90:91], v[92:93]
	v_fma_f64 v[60:61], v[60:61], v[94:95], v[96:97]
	;; [unrolled: 1-line block ×3, first 2 shown]
	v_add_f64_e32 v[90:91], v[58:59], v[62:63]
	v_fma_f64 v[52:53], v[52:53], v[110:111], v[126:127]
	v_fma_f64 v[54:55], v[54:55], v[110:111], -v[112:113]
	v_add_f64_e32 v[82:83], v[66:67], v[70:71]
	v_fma_f64 v[34:35], v[34:35], v[102:103], -v[122:123]
	v_fma_f64 v[48:49], v[48:49], v[106:107], v[124:125]
	v_fma_f64 v[50:51], v[50:51], v[106:107], -v[108:109]
	v_add_f64_e64 v[98:99], v[66:67], -v[70:71]
	v_add_f64_e32 v[92:93], v[64:65], v[68:69]
	v_add_f64_e64 v[94:95], v[64:65], -v[68:69]
	v_fma_f64 v[32:33], v[32:33], v[102:103], v[104:105]
	v_fma_f64 v[36:37], v[36:37], v[114:115], v[84:85]
	v_fma_f64 v[38:39], v[38:39], v[114:115], -v[86:87]
	v_fma_f64 v[44:45], v[44:45], v[118:119], v[88:89]
	v_fma_f64 v[46:47], v[46:47], v[118:119], -v[116:117]
	v_add_f64_e64 v[104:105], v[58:59], -v[62:63]
	v_add_f64_e32 v[84:85], v[56:57], v[60:61]
	v_add_f64_e64 v[86:87], v[56:57], -v[60:61]
	v_fma_f64 v[82:83], v[82:83], -0.5, v[42:43]
	v_fma_f64 v[88:89], v[90:91], -0.5, v[34:35]
	v_add_f64_e32 v[90:91], v[48:49], v[52:53]
	v_add_f64_e32 v[96:97], v[50:51], v[54:55]
	v_add_f64_e64 v[108:109], v[50:51], -v[54:55]
	v_fma_f64 v[92:93], v[92:93], -0.5, v[40:41]
	v_add_f64_e32 v[50:51], v[30:31], v[50:51]
	v_add_f64_e32 v[40:41], v[40:41], v[64:65]
	;; [unrolled: 1-line block ×6, first 2 shown]
	v_add_f64_e64 v[66:67], v[38:39], -v[46:47]
	v_fma_f64 v[84:85], v[84:85], -0.5, v[32:33]
	v_add_f64_e32 v[38:39], v[26:27], v[38:39]
	v_add_f64_e32 v[32:33], v[32:33], v[56:57]
	v_fma_f64 v[100:101], v[94:95], s[4:5], v[82:83]
	v_fma_f64 v[82:83], v[94:95], s[10:11], v[82:83]
	v_add_f64_e32 v[94:95], v[36:37], v[44:45]
	v_fma_f64 v[106:107], v[86:87], s[4:5], v[88:89]
	v_fma_f64 v[86:87], v[86:87], s[10:11], v[88:89]
	v_add_f64_e32 v[88:89], v[28:29], v[48:49]
	v_add_f64_e64 v[48:49], v[48:49], -v[52:53]
	v_fma_f64 v[28:29], v[90:91], -0.5, v[28:29]
	v_fma_f64 v[30:31], v[96:97], -0.5, v[30:31]
	v_fma_f64 v[56:57], v[98:99], s[10:11], v[92:93]
	v_fma_f64 v[58:59], v[98:99], s[4:5], v[92:93]
	v_add_f64_e64 v[36:37], v[36:37], -v[44:45]
	v_fma_f64 v[26:27], v[102:103], -0.5, v[26:27]
	v_add_f64_e32 v[50:51], v[50:51], v[54:55]
	v_add_f64_e32 v[40:41], v[40:41], v[68:69]
	;; [unrolled: 1-line block ×7, first 2 shown]
	v_mul_f64_e32 v[90:91], s[10:11], v[100:101]
	v_mul_f64_e32 v[96:97], 0.5, v[100:101]
	v_mul_f64_e32 v[92:93], s[10:11], v[82:83]
	v_mul_f64_e32 v[82:83], -0.5, v[82:83]
	v_fma_f64 v[24:25], v[94:95], -0.5, v[24:25]
	v_fma_f64 v[94:95], v[104:105], s[10:11], v[84:85]
	v_mul_f64_e32 v[98:99], s[10:11], v[106:107]
	v_mul_f64_e32 v[102:103], 0.5, v[106:107]
	v_fma_f64 v[84:85], v[104:105], s[4:5], v[84:85]
	v_mul_f64_e32 v[100:101], s[10:11], v[86:87]
	v_mul_f64_e32 v[86:87], -0.5, v[86:87]
	v_add_f64_e32 v[52:53], v[88:89], v[52:53]
	v_fma_f64 v[60:61], v[108:109], s[10:11], v[28:29]
	v_fma_f64 v[64:65], v[48:49], s[4:5], v[30:31]
	;; [unrolled: 1-line block ×5, first 2 shown]
	v_add_f64_e64 v[30:31], v[50:51], -v[42:43]
	v_add_f64_e32 v[32:33], v[44:45], v[46:47]
	v_add_f64_e32 v[34:35], v[38:39], v[54:55]
	v_add_f64_e64 v[38:39], v[38:39], -v[54:55]
	v_fma_f64 v[48:49], v[56:57], 0.5, v[90:91]
	v_fma_f64 v[56:57], v[56:57], s[4:5], v[96:97]
	v_fma_f64 v[70:71], v[58:59], -0.5, v[92:93]
	v_fma_f64 v[58:59], v[58:59], s[4:5], v[82:83]
	v_fma_f64 v[82:83], v[66:67], s[10:11], v[24:25]
	v_fma_f64 v[66:67], v[66:67], s[4:5], v[24:25]
	v_fma_f64 v[92:93], v[94:95], 0.5, v[98:99]
	v_fma_f64 v[94:95], v[94:95], s[4:5], v[102:103]
	v_fma_f64 v[90:91], v[36:37], s[10:11], v[26:27]
	v_fma_f64 v[96:97], v[84:85], -0.5, v[100:101]
	v_fma_f64 v[84:85], v[84:85], s[4:5], v[86:87]
	v_add_f64_e32 v[24:25], v[52:53], v[40:41]
	v_add_f64_e32 v[26:27], v[50:51], v[42:43]
	v_add_f64_e64 v[28:29], v[52:53], -v[40:41]
	v_add_f64_e64 v[36:37], v[44:45], -v[46:47]
	v_add_f64_e32 v[40:41], v[60:61], v[48:49]
	v_add_f64_e32 v[42:43], v[64:65], v[56:57]
	;; [unrolled: 1-line block ×4, first 2 shown]
	v_add_f64_e64 v[48:49], v[60:61], -v[48:49]
	v_add_f64_e64 v[50:51], v[64:65], -v[56:57]
	;; [unrolled: 1-line block ×4, first 2 shown]
	v_add_f64_e32 v[56:57], v[82:83], v[92:93]
	v_add_f64_e32 v[58:59], v[88:89], v[94:95]
	v_add_f64_e32 v[60:61], v[66:67], v[96:97]
	v_add_f64_e32 v[62:63], v[90:91], v[84:85]
	v_add_f64_e64 v[64:65], v[82:83], -v[92:93]
	v_add_f64_e64 v[68:69], v[66:67], -v[96:97]
	;; [unrolled: 1-line block ×4, first 2 shown]
	v_and_b32_e32 v82, 0xffff, v132
	s_wait_alu 0xf1ff
	v_cndmask_b32_e64 v83, 0, 0x1320, s1
	v_lshlrev_b32_e32 v84, 4, v133
	s_delay_alu instid0(VALU_DEP_3) | instskip(NEXT) | instid1(VALU_DEP_2)
	v_mul_u32_u24_e32 v82, 0x1320, v82
	v_add3_u32 v83, 0, v83, v84
	s_delay_alu instid0(VALU_DEP_2)
	v_add3_u32 v72, 0, v82, v72
	ds_store_b128 v83, v[24:27]
	ds_store_b128 v83, v[40:43] offset:816
	ds_store_b128 v83, v[44:47] offset:1632
	;; [unrolled: 1-line block ×5, first 2 shown]
	ds_store_b128 v72, v[32:35]
	ds_store_b128 v72, v[56:59] offset:816
	ds_store_b128 v72, v[60:63] offset:1632
	;; [unrolled: 1-line block ×5, first 2 shown]
	s_and_saveexec_b32 s1, s0
	s_cbranch_execz .LBB0_19
; %bb.18:
	v_mul_u32_u24_e32 v24, 0xa0a1, v79
	s_mov_b32 s4, 0xe8584caa
	s_mov_b32 s5, 0xbfebb67a
	;; [unrolled: 1-line block ×3, first 2 shown]
	s_wait_alu 0xfffe
	s_mov_b32 s10, s4
	v_lshrrev_b32_e32 v24, 21, v24
	s_delay_alu instid0(VALU_DEP_1) | instskip(NEXT) | instid1(VALU_DEP_1)
	v_mul_lo_u16 v24, v24, 51
	v_sub_nc_u16 v24, v75, v24
	s_delay_alu instid0(VALU_DEP_1) | instskip(NEXT) | instid1(VALU_DEP_1)
	v_and_b32_e32 v50, 0xffff, v24
	v_mul_u32_u24_e32 v24, 5, v50
	s_delay_alu instid0(VALU_DEP_1)
	v_lshlrev_b32_e32 v40, 4, v24
	s_clause 0x4
	global_load_b128 v[24:27], v40, s[8:9] offset:576
	global_load_b128 v[28:31], v40, s[8:9] offset:608
	;; [unrolled: 1-line block ×5, first 2 shown]
	s_wait_loadcnt 0x4
	v_mul_f64_e32 v[44:45], v[0:1], v[26:27]
	s_wait_loadcnt 0x3
	v_mul_f64_e32 v[46:47], v[20:21], v[30:31]
	v_mul_f64_e32 v[26:27], v[2:3], v[26:27]
	;; [unrolled: 1-line block ×3, first 2 shown]
	s_wait_loadcnt 0x2
	v_mul_f64_e32 v[48:49], v[12:13], v[34:35]
	v_mul_f64_e32 v[34:35], v[14:15], v[34:35]
	v_fma_f64 v[2:3], v[2:3], v[24:25], -v[44:45]
	v_fma_f64 v[22:23], v[22:23], v[28:29], -v[46:47]
	s_wait_loadcnt 0x1
	v_mul_f64_e32 v[44:45], v[16:17], v[38:39]
	s_wait_loadcnt 0x0
	v_mul_f64_e32 v[46:47], v[4:5], v[42:43]
	v_mul_f64_e32 v[38:39], v[18:19], v[38:39]
	;; [unrolled: 1-line block ×3, first 2 shown]
	v_fma_f64 v[0:1], v[0:1], v[24:25], v[26:27]
	v_fma_f64 v[20:21], v[20:21], v[28:29], v[30:31]
	v_fma_f64 v[14:15], v[14:15], v[32:33], -v[48:49]
	v_fma_f64 v[12:13], v[12:13], v[32:33], v[34:35]
	v_add_f64_e32 v[24:25], v[2:3], v[22:23]
	v_fma_f64 v[18:19], v[18:19], v[36:37], -v[44:45]
	v_fma_f64 v[6:7], v[6:7], v[40:41], -v[46:47]
	v_fma_f64 v[16:17], v[16:17], v[36:37], v[38:39]
	v_fma_f64 v[4:5], v[4:5], v[40:41], v[42:43]
	v_add_f64_e64 v[32:33], v[2:3], -v[22:23]
	v_add_f64_e32 v[26:27], v[0:1], v[20:21]
	v_add_f64_e64 v[28:29], v[0:1], -v[20:21]
	v_add_f64_e32 v[2:3], v[14:15], v[2:3]
	v_add_f64_e32 v[0:1], v[12:13], v[0:1]
	v_fma_f64 v[24:25], v[24:25], -0.5, v[14:15]
	v_add_f64_e32 v[38:39], v[10:11], v[18:19]
	v_add_f64_e32 v[30:31], v[18:19], v[6:7]
	v_add_f64_e64 v[14:15], v[18:19], -v[6:7]
	v_add_f64_e32 v[34:35], v[16:17], v[4:5]
	v_fma_f64 v[26:27], v[26:27], -0.5, v[12:13]
	v_add_f64_e32 v[22:23], v[2:3], v[22:23]
	v_fma_f64 v[36:37], v[28:29], s[4:5], v[24:25]
	s_wait_alu 0xfffe
	v_fma_f64 v[24:25], v[28:29], s[10:11], v[24:25]
	v_add_f64_e64 v[28:29], v[16:17], -v[4:5]
	v_add_f64_e32 v[16:17], v[8:9], v[16:17]
	v_fma_f64 v[10:11], v[30:31], -0.5, v[10:11]
	v_fma_f64 v[8:9], v[34:35], -0.5, v[8:9]
	v_fma_f64 v[12:13], v[32:33], s[10:11], v[26:27]
	v_fma_f64 v[26:27], v[32:33], s[4:5], v[26:27]
	v_add_f64_e32 v[6:7], v[38:39], v[6:7]
	v_mul_f64_e32 v[18:19], -0.5, v[36:37]
	v_mul_f64_e32 v[30:31], 0.5, v[24:25]
	v_mul_f64_e32 v[24:25], s[4:5], v[24:25]
	v_mul_f64_e32 v[32:33], s[4:5], v[36:37]
	v_add_f64_e32 v[4:5], v[16:17], v[4:5]
	v_add_f64_e32 v[16:17], v[0:1], v[20:21]
	v_fma_f64 v[20:21], v[28:29], s[4:5], v[10:11]
	v_fma_f64 v[28:29], v[28:29], s[10:11], v[10:11]
	;; [unrolled: 1-line block ×4, first 2 shown]
	v_add_f64_e64 v[2:3], v[6:7], -v[22:23]
	v_add_f64_e32 v[6:7], v[6:7], v[22:23]
	v_fma_f64 v[18:19], v[12:13], s[10:11], v[18:19]
	v_fma_f64 v[30:31], v[26:27], s[10:11], v[30:31]
	v_fma_f64 v[24:25], v[26:27], 0.5, v[24:25]
	v_fma_f64 v[26:27], v[12:13], -0.5, v[32:33]
	v_add_f64_e64 v[0:1], v[4:5], -v[16:17]
	v_add_f64_e32 v[4:5], v[4:5], v[16:17]
	v_add_f64_e64 v[10:11], v[20:21], -v[18:19]
	v_add_f64_e32 v[14:15], v[20:21], v[18:19]
	v_add_f64_e32 v[18:19], v[28:29], v[30:31]
	;; [unrolled: 1-line block ×4, first 2 shown]
	v_add_f64_e64 v[22:23], v[28:29], -v[30:31]
	v_add_f64_e64 v[20:21], v[8:9], -v[24:25]
	;; [unrolled: 1-line block ×3, first 2 shown]
	v_lshl_add_u32 v24, v50, 4, 0
	ds_store_b128 v24, v[4:7] offset:19584
	ds_store_b128 v24, v[16:19] offset:20400
	;; [unrolled: 1-line block ×6, first 2 shown]
.LBB0_19:
	s_wait_alu 0xfffe
	s_or_b32 exec_lo, exec_lo, s1
	v_lshlrev_b32_e32 v72, 2, v78
	global_wb scope:SCOPE_SE
	s_wait_dscnt 0x0
	s_barrier_signal -1
	s_barrier_wait -1
	global_inv scope:SCOPE_SE
	v_lshlrev_b64_e32 v[0:1], 4, v[72:73]
	v_lshlrev_b32_e32 v72, 2, v74
	s_mov_b32 s12, 0x134454ff
	s_mov_b32 s13, 0xbfee6f0e
	;; [unrolled: 1-line block ×3, first 2 shown]
	s_wait_alu 0xfffe
	s_mov_b32 s14, s12
	v_lshlrev_b64_e32 v[4:5], 4, v[72:73]
	v_lshlrev_b32_e32 v72, 2, v75
	v_add_co_u32 v12, s1, s8, v0
	s_wait_alu 0xf1ff
	v_add_co_ci_u32_e64 v13, s1, s9, v1, s1
	s_delay_alu instid0(VALU_DEP_3)
	v_lshlrev_b64_e32 v[24:25], 4, v[72:73]
	v_add_co_u32 v28, s1, s8, v4
	global_load_b128 v[0:3], v[12:13], off offset:4624
	s_wait_alu 0xf1ff
	v_add_co_ci_u32_e64 v29, s1, s9, v5, s1
	global_load_b128 v[4:7], v[12:13], off offset:4640
	v_add_co_u32 v44, s1, s8, v24
	s_clause 0x3
	global_load_b128 v[8:11], v[12:13], off offset:4656
	global_load_b128 v[12:15], v[12:13], off offset:4672
	;; [unrolled: 1-line block ×4, first 2 shown]
	s_wait_alu 0xf1ff
	v_add_co_ci_u32_e64 v45, s1, s9, v25, s1
	s_clause 0x5
	global_load_b128 v[24:27], v[28:29], off offset:4656
	global_load_b128 v[28:31], v[28:29], off offset:4672
	global_load_b128 v[32:35], v[44:45], off offset:4624
	global_load_b128 v[36:39], v[44:45], off offset:4640
	global_load_b128 v[40:43], v[44:45], off offset:4656
	global_load_b128 v[44:47], v[44:45], off offset:4672
	ds_load_b128 v[48:51], v210 offset:4896
	ds_load_b128 v[52:55], v210 offset:9792
	;; [unrolled: 1-line block ×13, first 2 shown]
	s_mov_b32 s4, 0x4755a5e
	s_mov_b32 s5, 0xbfe2cf23
	;; [unrolled: 1-line block ×3, first 2 shown]
	s_wait_alu 0xfffe
	s_mov_b32 s10, s4
	s_wait_loadcnt_dscnt 0xb0c
	v_mul_f64_e32 v[106:107], v[50:51], v[2:3]
	v_mul_f64_e32 v[2:3], v[48:49], v[2:3]
	s_wait_loadcnt_dscnt 0xa0b
	v_mul_f64_e32 v[108:109], v[54:55], v[6:7]
	v_mul_f64_e32 v[6:7], v[52:53], v[6:7]
	;; [unrolled: 3-line block ×5, first 2 shown]
	s_wait_dscnt 0x7
	v_mul_f64_e32 v[116:117], v[70:71], v[18:19]
	v_mul_f64_e32 v[18:19], v[68:69], v[18:19]
	s_wait_loadcnt_dscnt 0x506
	v_mul_f64_e32 v[118:119], v[74:75], v[26:27]
	v_mul_f64_e32 v[26:27], v[72:73], v[26:27]
	s_wait_loadcnt_dscnt 0x405
	;; [unrolled: 3-line block ×6, first 2 shown]
	v_mul_f64_e32 v[128:129], v[104:105], v[46:47]
	v_mul_f64_e32 v[46:47], v[102:103], v[46:47]
	v_fma_f64 v[48:49], v[48:49], v[0:1], v[106:107]
	v_fma_f64 v[50:51], v[50:51], v[0:1], -v[2:3]
	ds_load_b128 v[0:3], v210
	v_fma_f64 v[52:53], v[52:53], v[4:5], v[108:109]
	v_fma_f64 v[54:55], v[54:55], v[4:5], -v[6:7]
	ds_load_b128 v[4:7], v210 offset:1632
	v_fma_f64 v[56:57], v[56:57], v[8:9], v[110:111]
	v_fma_f64 v[8:9], v[58:59], v[8:9], -v[10:11]
	v_fma_f64 v[10:11], v[60:61], v[12:13], v[112:113]
	v_fma_f64 v[12:13], v[62:63], v[12:13], -v[14:15]
	;; [unrolled: 2-line block ×10, first 2 shown]
	global_wb scope:SCOPE_SE
	s_wait_dscnt 0x0
	s_barrier_signal -1
	s_barrier_wait -1
	global_inv scope:SCOPE_SE
	v_add_f64_e32 v[58:59], v[0:1], v[48:49]
	v_add_f64_e32 v[96:97], v[2:3], v[50:51]
	v_add_f64_e64 v[70:71], v[48:49], -v[52:53]
	v_add_f64_e64 v[84:85], v[52:53], -v[48:49]
	;; [unrolled: 1-line block ×3, first 2 shown]
	v_add_f64_e32 v[46:47], v[52:53], v[56:57]
	v_add_f64_e32 v[64:65], v[54:55], v[8:9]
	;; [unrolled: 1-line block ×6, first 2 shown]
	v_add_f64_e64 v[62:63], v[50:51], -v[12:13]
	v_add_f64_e64 v[74:75], v[10:11], -v[56:57]
	v_add_f64_e32 v[72:73], v[22:23], v[18:19]
	v_add_f64_e32 v[90:91], v[16:17], v[24:25]
	;; [unrolled: 1-line block ×4, first 2 shown]
	v_add_f64_e64 v[92:93], v[56:57], -v[10:11]
	v_add_f64_e64 v[48:49], v[48:49], -v[10:11]
	v_add_f64_e32 v[132:133], v[86:87], v[30:31]
	v_add_f64_e32 v[134:135], v[88:89], v[32:33]
	;; [unrolled: 1-line block ×6, first 2 shown]
	v_add_f64_e64 v[66:67], v[54:55], -v[8:9]
	v_add_f64_e64 v[106:107], v[52:53], -v[56:57]
	;; [unrolled: 1-line block ×15, first 2 shown]
	v_add_f64_e32 v[52:53], v[58:59], v[52:53]
	v_add_f64_e32 v[54:55], v[96:97], v[54:55]
	v_add_f64_e64 v[140:141], v[30:31], -v[34:35]
	v_fma_f64 v[46:47], v[46:47], -0.5, v[0:1]
	v_fma_f64 v[64:65], v[64:65], -0.5, v[2:3]
	v_fma_f64 v[0:1], v[60:61], -0.5, v[0:1]
	v_fma_f64 v[2:3], v[68:69], -0.5, v[2:3]
	v_add_f64_e64 v[68:69], v[24:25], -v[28:29]
	v_add_f64_e32 v[22:23], v[114:115], v[22:23]
	v_add_f64_e32 v[16:17], v[128:129], v[16:17]
	;; [unrolled: 1-line block ×3, first 2 shown]
	v_fma_f64 v[72:73], v[72:73], -0.5, v[4:5]
	v_fma_f64 v[90:91], v[90:91], -0.5, v[6:7]
	;; [unrolled: 1-line block ×4, first 2 shown]
	v_add_f64_e64 v[94:95], v[30:31], -v[42:43]
	v_add_f64_e64 v[82:83], v[36:37], -v[40:41]
	;; [unrolled: 1-line block ×3, first 2 shown]
	v_add_f64_e32 v[70:71], v[84:85], v[92:93]
	v_fma_f64 v[98:99], v[98:99], -0.5, v[86:87]
	v_fma_f64 v[100:101], v[100:101], -0.5, v[88:89]
	;; [unrolled: 1-line block ×4, first 2 shown]
	v_add_f64_e64 v[104:105], v[38:39], -v[42:43]
	v_add_f64_e32 v[34:35], v[132:133], v[34:35]
	v_add_f64_e64 v[144:145], v[32:33], -v[36:37]
	v_add_f64_e64 v[32:33], v[36:37], -v[32:33]
	v_add_f64_e32 v[36:37], v[134:135], v[36:37]
	v_add_f64_e64 v[122:123], v[26:27], -v[18:19]
	v_add_f64_e64 v[126:127], v[18:19], -v[26:27]
	;; [unrolled: 1-line block ×3, first 2 shown]
	v_add_f64_e32 v[74:75], v[108:109], v[110:111]
	v_add_f64_e32 v[50:51], v[50:51], v[112:113]
	v_add_f64_e64 v[60:61], v[28:29], -v[24:25]
	v_add_f64_e64 v[102:103], v[42:43], -v[38:39]
	;; [unrolled: 1-line block ×3, first 2 shown]
	v_add_f64_e32 v[8:9], v[54:55], v[8:9]
	v_fma_f64 v[84:85], v[62:63], s[12:13], v[46:47]
	v_fma_f64 v[96:97], v[48:49], s[14:15], v[64:65]
	;; [unrolled: 1-line block ×24, first 2 shown]
	v_add_f64_e32 v[68:69], v[20:21], v[68:69]
	v_add_f64_e32 v[20:21], v[52:53], v[56:57]
	;; [unrolled: 1-line block ×13, first 2 shown]
	v_fma_f64 v[30:31], v[66:67], s[4:5], v[84:85]
	s_wait_alu 0xfffe
	v_fma_f64 v[38:39], v[106:107], s[10:11], v[96:97]
	v_fma_f64 v[32:33], v[66:67], s[10:11], v[46:47]
	;; [unrolled: 1-line block ×23, first 2 shown]
	s_mov_b32 s4, 0x372fe950
	s_mov_b32 s5, 0x3fd3c6ef
	v_add_f64_e32 v[0:1], v[20:21], v[10:11]
	v_add_f64_e32 v[2:3], v[8:9], v[12:13]
	;; [unrolled: 1-line block ×6, first 2 shown]
	s_wait_alu 0xfffe
	v_fma_f64 v[12:13], v[58:59], s[4:5], v[30:31]
	v_fma_f64 v[14:15], v[74:75], s[4:5], v[38:39]
	;; [unrolled: 1-line block ×24, first 2 shown]
	s_mov_b32 s4, exec_lo
	ds_store_b128 v210, v[0:3]
	ds_store_b128 v210, v[4:7] offset:1632
	ds_store_b128 v210, v[12:15] offset:4896
	;; [unrolled: 1-line block ×14, first 2 shown]
	global_wb scope:SCOPE_SE
	s_wait_dscnt 0x0
	s_barrier_signal -1
	s_barrier_wait -1
	global_inv scope:SCOPE_SE
	ds_load_b128 v[4:7], v210
	v_lshlrev_b32_e32 v0, 4, v78
                                        ; implicit-def: $vgpr2_vgpr3
                                        ; implicit-def: $vgpr8_vgpr9
                                        ; implicit-def: $vgpr10_vgpr11
	s_delay_alu instid0(VALU_DEP_1)
	v_sub_nc_u32_e32 v12, 0, v0
	v_cmpx_ne_u32_e32 0, v78
	s_wait_alu 0xfffe
	s_xor_b32 s4, exec_lo, s4
	s_cbranch_execz .LBB0_21
; %bb.20:
	v_mov_b32_e32 v79, 0
	s_delay_alu instid0(VALU_DEP_1) | instskip(NEXT) | instid1(VALU_DEP_1)
	v_lshlrev_b64_e32 v[0:1], 4, v[78:79]
	v_add_co_u32 v0, s1, s8, v0
	s_wait_alu 0xf1ff
	s_delay_alu instid0(VALU_DEP_2)
	v_add_co_ci_u32_e64 v1, s1, s9, v1, s1
	global_load_b128 v[13:16], v[0:1], off offset:24208
	ds_load_b128 v[0:3], v12 offset:24480
	s_wait_dscnt 0x0
	v_add_f64_e64 v[8:9], v[4:5], -v[0:1]
	v_add_f64_e32 v[10:11], v[6:7], v[2:3]
	v_add_f64_e64 v[2:3], v[6:7], -v[2:3]
	v_add_f64_e32 v[0:1], v[4:5], v[0:1]
	s_delay_alu instid0(VALU_DEP_4) | instskip(NEXT) | instid1(VALU_DEP_4)
	v_mul_f64_e32 v[6:7], 0.5, v[8:9]
	v_mul_f64_e32 v[4:5], 0.5, v[10:11]
	s_delay_alu instid0(VALU_DEP_4) | instskip(SKIP_1) | instid1(VALU_DEP_3)
	v_mul_f64_e32 v[2:3], 0.5, v[2:3]
	s_wait_loadcnt 0x0
	v_mul_f64_e32 v[8:9], v[6:7], v[15:16]
	s_delay_alu instid0(VALU_DEP_2) | instskip(SKIP_1) | instid1(VALU_DEP_3)
	v_fma_f64 v[10:11], v[4:5], v[15:16], v[2:3]
	v_fma_f64 v[2:3], v[4:5], v[15:16], -v[2:3]
	v_fma_f64 v[17:18], v[0:1], 0.5, v[8:9]
	v_fma_f64 v[0:1], v[0:1], 0.5, -v[8:9]
	s_delay_alu instid0(VALU_DEP_4) | instskip(NEXT) | instid1(VALU_DEP_4)
	v_fma_f64 v[8:9], -v[13:14], v[6:7], v[10:11]
	v_fma_f64 v[2:3], -v[13:14], v[6:7], v[2:3]
	v_dual_mov_b32 v10, v78 :: v_dual_mov_b32 v11, v79
	v_fma_f64 v[15:16], v[4:5], v[13:14], v[17:18]
	v_fma_f64 v[0:1], -v[4:5], v[13:14], v[0:1]
                                        ; implicit-def: $vgpr4_vgpr5
	ds_store_b64 v210, v[15:16]
.LBB0_21:
	s_wait_alu 0xfffe
	s_and_not1_saveexec_b32 s1, s4
	s_cbranch_execz .LBB0_23
; %bb.22:
	s_wait_dscnt 0x0
	v_add_f64_e32 v[13:14], v[4:5], v[6:7]
	v_add_f64_e64 v[0:1], v[4:5], -v[6:7]
	v_mov_b32_e32 v6, 0
	v_mov_b32_e32 v8, 0
	v_dual_mov_b32 v9, 0 :: v_dual_mov_b32 v10, 0
	s_delay_alu instid0(VALU_DEP_2)
	v_mov_b32_e32 v2, v8
	ds_load_b64 v[4:5], v6 offset:12248
	v_mov_b32_e32 v11, 0
	v_mov_b32_e32 v3, v9
	s_wait_dscnt 0x0
	v_xor_b32_e32 v5, 0x80000000, v5
	ds_store_b64 v210, v[13:14]
	ds_store_b64 v6, v[4:5] offset:12248
.LBB0_23:
	s_wait_alu 0xfffe
	s_or_b32 exec_lo, exec_lo, s1
	s_wait_dscnt 0x0
	v_lshlrev_b64_e32 v[4:5], 4, v[10:11]
	s_add_nc_u64 s[4:5], s[8:9], 0x5e90
	s_wait_alu 0xfffe
	s_delay_alu instid0(VALU_DEP_1) | instskip(SKIP_1) | instid1(VALU_DEP_2)
	v_add_co_u32 v4, s1, s4, v4
	s_wait_alu 0xf1ff
	v_add_co_ci_u32_e64 v5, s1, s5, v5, s1
	s_clause 0x1
	global_load_b128 v[13:16], v[4:5], off offset:1632
	global_load_b128 v[17:20], v[4:5], off offset:3264
	ds_store_b64 v210, v[8:9] offset:8
	ds_store_b128 v12, v[0:3] offset:24480
	ds_load_b128 v[0:3], v210 offset:1632
	ds_load_b128 v[6:9], v12 offset:22848
	s_wait_dscnt 0x0
	v_add_f64_e64 v[10:11], v[0:1], -v[6:7]
	v_add_f64_e32 v[21:22], v[2:3], v[8:9]
	v_add_f64_e64 v[2:3], v[2:3], -v[8:9]
	v_add_f64_e32 v[0:1], v[0:1], v[6:7]
	s_delay_alu instid0(VALU_DEP_4) | instskip(NEXT) | instid1(VALU_DEP_4)
	v_mul_f64_e32 v[8:9], 0.5, v[10:11]
	v_mul_f64_e32 v[10:11], 0.5, v[21:22]
	s_delay_alu instid0(VALU_DEP_4) | instskip(SKIP_1) | instid1(VALU_DEP_3)
	v_mul_f64_e32 v[2:3], 0.5, v[2:3]
	s_wait_loadcnt 0x1
	v_mul_f64_e32 v[6:7], v[8:9], v[15:16]
	s_delay_alu instid0(VALU_DEP_2) | instskip(SKIP_1) | instid1(VALU_DEP_3)
	v_fma_f64 v[21:22], v[10:11], v[15:16], v[2:3]
	v_fma_f64 v[15:16], v[10:11], v[15:16], -v[2:3]
	v_fma_f64 v[23:24], v[0:1], 0.5, v[6:7]
	v_fma_f64 v[6:7], v[0:1], 0.5, -v[6:7]
	s_delay_alu instid0(VALU_DEP_4) | instskip(NEXT) | instid1(VALU_DEP_4)
	v_fma_f64 v[2:3], -v[13:14], v[8:9], v[21:22]
	v_fma_f64 v[8:9], -v[13:14], v[8:9], v[15:16]
	s_delay_alu instid0(VALU_DEP_4) | instskip(NEXT) | instid1(VALU_DEP_4)
	v_fma_f64 v[0:1], v[10:11], v[13:14], v[23:24]
	v_fma_f64 v[6:7], -v[10:11], v[13:14], v[6:7]
	global_load_b128 v[13:16], v[4:5], off offset:4896
	ds_store_b128 v210, v[0:3] offset:1632
	ds_store_b128 v12, v[6:9] offset:22848
	ds_load_b128 v[0:3], v210 offset:3264
	ds_load_b128 v[6:9], v12 offset:21216
	s_wait_dscnt 0x0
	v_add_f64_e64 v[10:11], v[0:1], -v[6:7]
	v_add_f64_e32 v[21:22], v[2:3], v[8:9]
	v_add_f64_e64 v[2:3], v[2:3], -v[8:9]
	v_add_f64_e32 v[0:1], v[0:1], v[6:7]
	s_delay_alu instid0(VALU_DEP_4) | instskip(NEXT) | instid1(VALU_DEP_4)
	v_mul_f64_e32 v[8:9], 0.5, v[10:11]
	v_mul_f64_e32 v[10:11], 0.5, v[21:22]
	s_delay_alu instid0(VALU_DEP_4) | instskip(SKIP_1) | instid1(VALU_DEP_3)
	v_mul_f64_e32 v[2:3], 0.5, v[2:3]
	s_wait_loadcnt 0x1
	v_mul_f64_e32 v[6:7], v[8:9], v[19:20]
	s_delay_alu instid0(VALU_DEP_2) | instskip(SKIP_1) | instid1(VALU_DEP_3)
	v_fma_f64 v[21:22], v[10:11], v[19:20], v[2:3]
	v_fma_f64 v[19:20], v[10:11], v[19:20], -v[2:3]
	v_fma_f64 v[23:24], v[0:1], 0.5, v[6:7]
	v_fma_f64 v[6:7], v[0:1], 0.5, -v[6:7]
	s_delay_alu instid0(VALU_DEP_4) | instskip(NEXT) | instid1(VALU_DEP_4)
	v_fma_f64 v[2:3], -v[17:18], v[8:9], v[21:22]
	v_fma_f64 v[8:9], -v[17:18], v[8:9], v[19:20]
	s_delay_alu instid0(VALU_DEP_4) | instskip(NEXT) | instid1(VALU_DEP_4)
	v_fma_f64 v[0:1], v[10:11], v[17:18], v[23:24]
	v_fma_f64 v[6:7], -v[10:11], v[17:18], v[6:7]
	global_load_b128 v[17:20], v[4:5], off offset:6528
	ds_store_b128 v210, v[0:3] offset:3264
	;; [unrolled: 28-line block ×4, first 2 shown]
	ds_store_b128 v12, v[6:9] offset:17952
	ds_load_b128 v[0:3], v210 offset:8160
	ds_load_b128 v[6:9], v12 offset:16320
	s_wait_dscnt 0x0
	v_add_f64_e64 v[10:11], v[0:1], -v[6:7]
	v_add_f64_e32 v[21:22], v[2:3], v[8:9]
	v_add_f64_e64 v[2:3], v[2:3], -v[8:9]
	v_add_f64_e32 v[0:1], v[0:1], v[6:7]
	s_delay_alu instid0(VALU_DEP_4) | instskip(NEXT) | instid1(VALU_DEP_4)
	v_mul_f64_e32 v[8:9], 0.5, v[10:11]
	v_mul_f64_e32 v[10:11], 0.5, v[21:22]
	s_delay_alu instid0(VALU_DEP_4) | instskip(SKIP_1) | instid1(VALU_DEP_3)
	v_mul_f64_e32 v[2:3], 0.5, v[2:3]
	s_wait_loadcnt 0x1
	v_mul_f64_e32 v[6:7], v[8:9], v[15:16]
	s_delay_alu instid0(VALU_DEP_2) | instskip(SKIP_1) | instid1(VALU_DEP_3)
	v_fma_f64 v[21:22], v[10:11], v[15:16], v[2:3]
	v_fma_f64 v[15:16], v[10:11], v[15:16], -v[2:3]
	v_fma_f64 v[23:24], v[0:1], 0.5, v[6:7]
	v_fma_f64 v[6:7], v[0:1], 0.5, -v[6:7]
	s_delay_alu instid0(VALU_DEP_4) | instskip(NEXT) | instid1(VALU_DEP_4)
	v_fma_f64 v[2:3], -v[13:14], v[8:9], v[21:22]
	v_fma_f64 v[8:9], -v[13:14], v[8:9], v[15:16]
	s_delay_alu instid0(VALU_DEP_4) | instskip(NEXT) | instid1(VALU_DEP_4)
	v_fma_f64 v[0:1], v[10:11], v[13:14], v[23:24]
	v_fma_f64 v[6:7], -v[10:11], v[13:14], v[6:7]
	ds_store_b128 v210, v[0:3] offset:8160
	ds_store_b128 v12, v[6:9] offset:16320
	ds_load_b128 v[0:3], v210 offset:9792
	ds_load_b128 v[6:9], v12 offset:14688
	s_wait_dscnt 0x0
	v_add_f64_e64 v[10:11], v[0:1], -v[6:7]
	v_add_f64_e32 v[13:14], v[2:3], v[8:9]
	v_add_f64_e64 v[2:3], v[2:3], -v[8:9]
	v_add_f64_e32 v[0:1], v[0:1], v[6:7]
	s_delay_alu instid0(VALU_DEP_4) | instskip(NEXT) | instid1(VALU_DEP_4)
	v_mul_f64_e32 v[8:9], 0.5, v[10:11]
	v_mul_f64_e32 v[10:11], 0.5, v[13:14]
	s_delay_alu instid0(VALU_DEP_4) | instskip(SKIP_1) | instid1(VALU_DEP_3)
	v_mul_f64_e32 v[2:3], 0.5, v[2:3]
	s_wait_loadcnt 0x0
	v_mul_f64_e32 v[6:7], v[8:9], v[19:20]
	s_delay_alu instid0(VALU_DEP_2) | instskip(SKIP_1) | instid1(VALU_DEP_3)
	v_fma_f64 v[13:14], v[10:11], v[19:20], v[2:3]
	v_fma_f64 v[15:16], v[10:11], v[19:20], -v[2:3]
	v_fma_f64 v[19:20], v[0:1], 0.5, v[6:7]
	v_fma_f64 v[6:7], v[0:1], 0.5, -v[6:7]
	s_delay_alu instid0(VALU_DEP_4) | instskip(NEXT) | instid1(VALU_DEP_4)
	v_fma_f64 v[2:3], -v[17:18], v[8:9], v[13:14]
	v_fma_f64 v[8:9], -v[17:18], v[8:9], v[15:16]
	s_delay_alu instid0(VALU_DEP_4) | instskip(NEXT) | instid1(VALU_DEP_4)
	v_fma_f64 v[0:1], v[10:11], v[17:18], v[19:20]
	v_fma_f64 v[6:7], -v[10:11], v[17:18], v[6:7]
	ds_store_b128 v210, v[0:3] offset:9792
	ds_store_b128 v12, v[6:9] offset:14688
	s_and_saveexec_b32 s1, s0
	s_cbranch_execz .LBB0_25
; %bb.24:
	global_load_b128 v[0:3], v[4:5], off offset:11424
	ds_load_b128 v[4:7], v210 offset:11424
	ds_load_b128 v[8:11], v12 offset:13056
	s_wait_dscnt 0x0
	v_add_f64_e64 v[13:14], v[4:5], -v[8:9]
	v_add_f64_e32 v[15:16], v[6:7], v[10:11]
	v_add_f64_e64 v[6:7], v[6:7], -v[10:11]
	v_add_f64_e32 v[4:5], v[4:5], v[8:9]
	s_delay_alu instid0(VALU_DEP_4) | instskip(NEXT) | instid1(VALU_DEP_4)
	v_mul_f64_e32 v[10:11], 0.5, v[13:14]
	v_mul_f64_e32 v[13:14], 0.5, v[15:16]
	s_delay_alu instid0(VALU_DEP_4) | instskip(SKIP_1) | instid1(VALU_DEP_3)
	v_mul_f64_e32 v[6:7], 0.5, v[6:7]
	s_wait_loadcnt 0x0
	v_mul_f64_e32 v[8:9], v[10:11], v[2:3]
	s_delay_alu instid0(VALU_DEP_2) | instskip(SKIP_1) | instid1(VALU_DEP_3)
	v_fma_f64 v[15:16], v[13:14], v[2:3], v[6:7]
	v_fma_f64 v[2:3], v[13:14], v[2:3], -v[6:7]
	v_fma_f64 v[6:7], v[4:5], 0.5, v[8:9]
	v_fma_f64 v[17:18], v[4:5], 0.5, -v[8:9]
	s_delay_alu instid0(VALU_DEP_4) | instskip(NEXT) | instid1(VALU_DEP_4)
	v_fma_f64 v[4:5], -v[0:1], v[10:11], v[15:16]
	v_fma_f64 v[8:9], -v[0:1], v[10:11], v[2:3]
	s_delay_alu instid0(VALU_DEP_4) | instskip(NEXT) | instid1(VALU_DEP_4)
	v_fma_f64 v[2:3], v[13:14], v[0:1], v[6:7]
	v_fma_f64 v[6:7], -v[13:14], v[0:1], v[17:18]
	ds_store_b128 v210, v[2:5] offset:11424
	ds_store_b128 v12, v[6:9] offset:13056
.LBB0_25:
	s_wait_alu 0xfffe
	s_or_b32 exec_lo, exec_lo, s1
	global_wb scope:SCOPE_SE
	s_wait_dscnt 0x0
	s_barrier_signal -1
	s_barrier_wait -1
	global_inv scope:SCOPE_SE
	s_and_saveexec_b32 s0, vcc_lo
	s_cbranch_execz .LBB0_28
; %bb.26:
	v_mul_lo_u32 v2, s3, v80
	v_mul_lo_u32 v3, s2, v81
	v_mad_co_u64_u32 v[0:1], null, s2, v80, 0
	v_lshl_add_u32 v31, v78, 4, 0
	v_dual_mov_b32 v79, 0 :: v_dual_add_nc_u32 v12, 0x66, v78
	v_lshlrev_b64_e32 v[10:11], 4, v[76:77]
	v_add_nc_u32_e32 v26, 0x264, v78
	v_add_nc_u32_e32 v30, 0x594, v78
	v_add3_u32 v1, v1, v3, v2
	ds_load_b128 v[2:5], v31
	ds_load_b128 v[6:9], v31 offset:1632
	v_mov_b32_e32 v13, v79
	v_lshlrev_b64_e32 v[14:15], 4, v[78:79]
	v_mov_b32_e32 v25, v79
	v_lshlrev_b64_e32 v[0:1], 4, v[0:1]
	v_dual_mov_b32 v27, v79 :: v_dual_add_nc_u32 v24, 0x1fe, v78
	s_delay_alu instid0(VALU_DEP_2) | instskip(SKIP_1) | instid1(VALU_DEP_3)
	v_add_co_u32 v0, vcc_lo, s6, v0
	s_wait_alu 0xfffd
	v_add_co_ci_u32_e32 v1, vcc_lo, s7, v1, vcc_lo
	s_delay_alu instid0(VALU_DEP_3) | instskip(NEXT) | instid1(VALU_DEP_3)
	v_lshlrev_b64_e32 v[24:25], 4, v[24:25]
	v_add_co_u32 v0, vcc_lo, v0, v10
	s_wait_alu 0xfffd
	s_delay_alu instid0(VALU_DEP_3) | instskip(SKIP_1) | instid1(VALU_DEP_3)
	v_add_co_ci_u32_e32 v1, vcc_lo, v1, v11, vcc_lo
	v_lshlrev_b64_e32 v[10:11], 4, v[12:13]
	v_add_co_u32 v12, vcc_lo, v0, v14
	s_wait_alu 0xfffd
	s_delay_alu instid0(VALU_DEP_3) | instskip(SKIP_1) | instid1(VALU_DEP_4)
	v_add_co_ci_u32_e32 v13, vcc_lo, v1, v15, vcc_lo
	v_add_nc_u32_e32 v14, 0xcc, v78
	v_add_co_u32 v10, vcc_lo, v0, v10
	v_mov_b32_e32 v15, v79
	s_wait_alu 0xfffd
	v_add_co_ci_u32_e32 v11, vcc_lo, v1, v11, vcc_lo
	s_wait_dscnt 0x1
	global_store_b128 v[12:13], v[2:5], off
	s_wait_dscnt 0x0
	global_store_b128 v[10:11], v[6:9], off
	v_add_nc_u32_e32 v10, 0x132, v78
	v_lshlrev_b64_e32 v[2:3], 4, v[14:15]
	v_dual_mov_b32 v11, v79 :: v_dual_add_nc_u32 v12, 0x198, v78
	v_mov_b32_e32 v13, v79
	s_delay_alu instid0(VALU_DEP_3) | instskip(SKIP_1) | instid1(VALU_DEP_4)
	v_add_co_u32 v18, vcc_lo, v0, v2
	s_wait_alu 0xfffd
	v_add_co_ci_u32_e32 v19, vcc_lo, v1, v3, vcc_lo
	ds_load_b128 v[2:5], v31 offset:3264
	ds_load_b128 v[6:9], v31 offset:4896
	v_lshlrev_b64_e32 v[20:21], 4, v[10:11]
	v_lshlrev_b64_e32 v[22:23], 4, v[12:13]
	ds_load_b128 v[10:13], v31 offset:6528
	ds_load_b128 v[14:17], v31 offset:8160
	v_add_co_u32 v20, vcc_lo, v0, v20
	s_wait_alu 0xfffd
	v_add_co_ci_u32_e32 v21, vcc_lo, v1, v21, vcc_lo
	v_add_co_u32 v22, vcc_lo, v0, v22
	s_wait_alu 0xfffd
	v_add_co_ci_u32_e32 v23, vcc_lo, v1, v23, vcc_lo
	;; [unrolled: 3-line block ×3, first 2 shown]
	s_wait_dscnt 0x3
	global_store_b128 v[18:19], v[2:5], off
	s_wait_dscnt 0x2
	global_store_b128 v[20:21], v[6:9], off
	;; [unrolled: 2-line block ×4, first 2 shown]
	v_add_nc_u32_e32 v10, 0x2ca, v78
	v_lshlrev_b64_e32 v[2:3], 4, v[26:27]
	v_dual_mov_b32 v11, v79 :: v_dual_add_nc_u32 v12, 0x330, v78
	v_dual_mov_b32 v13, v79 :: v_dual_add_nc_u32 v24, 0x396, v78
	;; [unrolled: 1-line block ×3, first 2 shown]
	s_delay_alu instid0(VALU_DEP_4)
	v_add_co_u32 v18, vcc_lo, v0, v2
	s_wait_alu 0xfffd
	v_add_co_ci_u32_e32 v19, vcc_lo, v1, v3, vcc_lo
	ds_load_b128 v[2:5], v31 offset:9792
	ds_load_b128 v[6:9], v31 offset:11424
	v_lshlrev_b64_e32 v[20:21], 4, v[10:11]
	v_lshlrev_b64_e32 v[22:23], 4, v[12:13]
	ds_load_b128 v[10:13], v31 offset:13056
	ds_load_b128 v[14:17], v31 offset:14688
	v_lshlrev_b64_e32 v[24:25], 4, v[24:25]
	v_add_co_u32 v20, vcc_lo, v0, v20
	s_wait_alu 0xfffd
	v_add_co_ci_u32_e32 v21, vcc_lo, v1, v21, vcc_lo
	v_add_co_u32 v22, vcc_lo, v0, v22
	s_wait_alu 0xfffd
	v_add_co_ci_u32_e32 v23, vcc_lo, v1, v23, vcc_lo
	;; [unrolled: 3-line block ×3, first 2 shown]
	s_wait_dscnt 0x3
	global_store_b128 v[18:19], v[2:5], off
	s_wait_dscnt 0x2
	global_store_b128 v[20:21], v[6:9], off
	s_wait_dscnt 0x1
	global_store_b128 v[22:23], v[10:13], off
	s_wait_dscnt 0x0
	global_store_b128 v[24:25], v[14:17], off
	v_dual_mov_b32 v11, v79 :: v_dual_add_nc_u32 v10, 0x462, v78
	v_lshlrev_b64_e32 v[2:3], 4, v[26:27]
	v_dual_mov_b32 v13, v79 :: v_dual_add_nc_u32 v12, 0x4c8, v78
	v_dual_mov_b32 v19, v79 :: v_dual_add_nc_u32 v18, 0x52e, v78
	s_delay_alu instid0(VALU_DEP_4) | instskip(NEXT) | instid1(VALU_DEP_4)
	v_lshlrev_b64_e32 v[10:11], 4, v[10:11]
	v_add_co_u32 v22, vcc_lo, v0, v2
	s_wait_alu 0xfffd
	v_add_co_ci_u32_e32 v23, vcc_lo, v1, v3, vcc_lo
	ds_load_b128 v[2:5], v31 offset:16320
	ds_load_b128 v[6:9], v31 offset:17952
	v_add_co_u32 v24, vcc_lo, v0, v10
	s_wait_alu 0xfffd
	v_add_co_ci_u32_e32 v25, vcc_lo, v1, v11, vcc_lo
	v_lshlrev_b64_e32 v[26:27], 4, v[12:13]
	ds_load_b128 v[10:13], v31 offset:19584
	ds_load_b128 v[14:17], v31 offset:21216
	v_lshlrev_b64_e32 v[28:29], 4, v[18:19]
	ds_load_b128 v[18:21], v31 offset:22848
	v_mov_b32_e32 v31, v79
	v_add_co_u32 v26, vcc_lo, v0, v26
	s_wait_alu 0xfffd
	v_add_co_ci_u32_e32 v27, vcc_lo, v1, v27, vcc_lo
	s_delay_alu instid0(VALU_DEP_3) | instskip(SKIP_3) | instid1(VALU_DEP_3)
	v_lshlrev_b64_e32 v[30:31], 4, v[30:31]
	v_add_co_u32 v28, vcc_lo, v0, v28
	s_wait_alu 0xfffd
	v_add_co_ci_u32_e32 v29, vcc_lo, v1, v29, vcc_lo
	v_add_co_u32 v30, vcc_lo, v0, v30
	s_wait_alu 0xfffd
	v_add_co_ci_u32_e32 v31, vcc_lo, v1, v31, vcc_lo
	v_cmp_eq_u32_e32 vcc_lo, 0x65, v78
	s_wait_dscnt 0x4
	global_store_b128 v[22:23], v[2:5], off
	s_wait_dscnt 0x3
	global_store_b128 v[24:25], v[6:9], off
	;; [unrolled: 2-line block ×5, first 2 shown]
	s_and_b32 exec_lo, exec_lo, vcc_lo
	s_cbranch_execz .LBB0_28
; %bb.27:
	ds_load_b128 v[2:5], v79 offset:24480
	s_wait_dscnt 0x0
	global_store_b128 v[0:1], v[2:5], off offset:24480
.LBB0_28:
	s_nop 0
	s_sendmsg sendmsg(MSG_DEALLOC_VGPRS)
	s_endpgm
	.section	.rodata,"a",@progbits
	.p2align	6, 0x0
	.amdhsa_kernel fft_rtc_back_len1530_factors_17_3_6_5_wgs_102_tpt_102_halfLds_dp_op_CI_CI_unitstride_sbrr_R2C_dirReg
		.amdhsa_group_segment_fixed_size 0
		.amdhsa_private_segment_fixed_size 0
		.amdhsa_kernarg_size 104
		.amdhsa_user_sgpr_count 2
		.amdhsa_user_sgpr_dispatch_ptr 0
		.amdhsa_user_sgpr_queue_ptr 0
		.amdhsa_user_sgpr_kernarg_segment_ptr 1
		.amdhsa_user_sgpr_dispatch_id 0
		.amdhsa_user_sgpr_private_segment_size 0
		.amdhsa_wavefront_size32 1
		.amdhsa_uses_dynamic_stack 0
		.amdhsa_enable_private_segment 0
		.amdhsa_system_sgpr_workgroup_id_x 1
		.amdhsa_system_sgpr_workgroup_id_y 0
		.amdhsa_system_sgpr_workgroup_id_z 0
		.amdhsa_system_sgpr_workgroup_info 0
		.amdhsa_system_vgpr_workitem_id 0
		.amdhsa_next_free_vgpr 227
		.amdhsa_next_free_sgpr 54
		.amdhsa_reserve_vcc 1
		.amdhsa_float_round_mode_32 0
		.amdhsa_float_round_mode_16_64 0
		.amdhsa_float_denorm_mode_32 3
		.amdhsa_float_denorm_mode_16_64 3
		.amdhsa_fp16_overflow 0
		.amdhsa_workgroup_processor_mode 1
		.amdhsa_memory_ordered 1
		.amdhsa_forward_progress 0
		.amdhsa_round_robin_scheduling 0
		.amdhsa_exception_fp_ieee_invalid_op 0
		.amdhsa_exception_fp_denorm_src 0
		.amdhsa_exception_fp_ieee_div_zero 0
		.amdhsa_exception_fp_ieee_overflow 0
		.amdhsa_exception_fp_ieee_underflow 0
		.amdhsa_exception_fp_ieee_inexact 0
		.amdhsa_exception_int_div_zero 0
	.end_amdhsa_kernel
	.text
.Lfunc_end0:
	.size	fft_rtc_back_len1530_factors_17_3_6_5_wgs_102_tpt_102_halfLds_dp_op_CI_CI_unitstride_sbrr_R2C_dirReg, .Lfunc_end0-fft_rtc_back_len1530_factors_17_3_6_5_wgs_102_tpt_102_halfLds_dp_op_CI_CI_unitstride_sbrr_R2C_dirReg
                                        ; -- End function
	.section	.AMDGPU.csdata,"",@progbits
; Kernel info:
; codeLenInByte = 15616
; NumSgprs: 56
; NumVgprs: 227
; ScratchSize: 0
; MemoryBound: 0
; FloatMode: 240
; IeeeMode: 1
; LDSByteSize: 0 bytes/workgroup (compile time only)
; SGPRBlocks: 6
; VGPRBlocks: 28
; NumSGPRsForWavesPerEU: 56
; NumVGPRsForWavesPerEU: 227
; Occupancy: 6
; WaveLimiterHint : 1
; COMPUTE_PGM_RSRC2:SCRATCH_EN: 0
; COMPUTE_PGM_RSRC2:USER_SGPR: 2
; COMPUTE_PGM_RSRC2:TRAP_HANDLER: 0
; COMPUTE_PGM_RSRC2:TGID_X_EN: 1
; COMPUTE_PGM_RSRC2:TGID_Y_EN: 0
; COMPUTE_PGM_RSRC2:TGID_Z_EN: 0
; COMPUTE_PGM_RSRC2:TIDIG_COMP_CNT: 0
	.text
	.p2alignl 7, 3214868480
	.fill 96, 4, 3214868480
	.type	__hip_cuid_8d6ab04f027c1c54,@object ; @__hip_cuid_8d6ab04f027c1c54
	.section	.bss,"aw",@nobits
	.globl	__hip_cuid_8d6ab04f027c1c54
__hip_cuid_8d6ab04f027c1c54:
	.byte	0                               ; 0x0
	.size	__hip_cuid_8d6ab04f027c1c54, 1

	.ident	"AMD clang version 19.0.0git (https://github.com/RadeonOpenCompute/llvm-project roc-6.4.0 25133 c7fe45cf4b819c5991fe208aaa96edf142730f1d)"
	.section	".note.GNU-stack","",@progbits
	.addrsig
	.addrsig_sym __hip_cuid_8d6ab04f027c1c54
	.amdgpu_metadata
---
amdhsa.kernels:
  - .args:
      - .actual_access:  read_only
        .address_space:  global
        .offset:         0
        .size:           8
        .value_kind:     global_buffer
      - .offset:         8
        .size:           8
        .value_kind:     by_value
      - .actual_access:  read_only
        .address_space:  global
        .offset:         16
        .size:           8
        .value_kind:     global_buffer
      - .actual_access:  read_only
        .address_space:  global
        .offset:         24
        .size:           8
        .value_kind:     global_buffer
      - .actual_access:  read_only
        .address_space:  global
        .offset:         32
        .size:           8
        .value_kind:     global_buffer
      - .offset:         40
        .size:           8
        .value_kind:     by_value
      - .actual_access:  read_only
        .address_space:  global
        .offset:         48
        .size:           8
        .value_kind:     global_buffer
      - .actual_access:  read_only
        .address_space:  global
        .offset:         56
        .size:           8
        .value_kind:     global_buffer
      - .offset:         64
        .size:           4
        .value_kind:     by_value
      - .actual_access:  read_only
        .address_space:  global
        .offset:         72
        .size:           8
        .value_kind:     global_buffer
      - .actual_access:  read_only
        .address_space:  global
        .offset:         80
        .size:           8
        .value_kind:     global_buffer
      - .actual_access:  read_only
        .address_space:  global
        .offset:         88
        .size:           8
        .value_kind:     global_buffer
      - .actual_access:  write_only
        .address_space:  global
        .offset:         96
        .size:           8
        .value_kind:     global_buffer
    .group_segment_fixed_size: 0
    .kernarg_segment_align: 8
    .kernarg_segment_size: 104
    .language:       OpenCL C
    .language_version:
      - 2
      - 0
    .max_flat_workgroup_size: 102
    .name:           fft_rtc_back_len1530_factors_17_3_6_5_wgs_102_tpt_102_halfLds_dp_op_CI_CI_unitstride_sbrr_R2C_dirReg
    .private_segment_fixed_size: 0
    .sgpr_count:     56
    .sgpr_spill_count: 0
    .symbol:         fft_rtc_back_len1530_factors_17_3_6_5_wgs_102_tpt_102_halfLds_dp_op_CI_CI_unitstride_sbrr_R2C_dirReg.kd
    .uniform_work_group_size: 1
    .uses_dynamic_stack: false
    .vgpr_count:     227
    .vgpr_spill_count: 0
    .wavefront_size: 32
    .workgroup_processor_mode: 1
amdhsa.target:   amdgcn-amd-amdhsa--gfx1201
amdhsa.version:
  - 1
  - 2
...

	.end_amdgpu_metadata
